;; amdgpu-corpus repo=triton-lang/triton kind=triton arch=gfx1201 opt=O3 lang=triton
	.amdgcn_target "amdgcn-amd-amdhsa--gfx1201"
	.amdhsa_code_object_version 5
	.text
	.globl	seeded_dropout_kernel           ; -- Begin function seeded_dropout_kernel
	.p2align	8
	.type	seeded_dropout_kernel,@function
seeded_dropout_kernel:                  ; @seeded_dropout_kernel
.Lfunc_begin0:
	.cfi_sections .debug_frame
	.cfi_startproc
; %bb.0:
	.file	1 "/root/src/amdgpu-assembly/repos/triton-lang__triton-aot" "dropout.py"
	.loc	1 11 41 prologue_end            ; dropout.py:11:41
	s_bfe_u32 s4, ttmp8, 0x50019
	v_dual_mov_b32 v19, 0 :: v_dual_and_b32 v0, 31, v0
	s_lshl_b32 s4, s4, 5
	s_clause 0x1
	s_load_b64 s[2:3], s[0:1], 0x0
	s_load_b32 s12, s[0:1], 0x10
	.loc	1 10 24                         ; dropout.py:10:24
	s_lshl_b32 s5, ttmp9, 10
	.loc	1 11 41                         ; dropout.py:11:41
	s_and_b32 s4, s4, 0x60
	v_mov_b32_e32 v16, 0
	.loc	1 11 28 is_stmt 0               ; dropout.py:11:28
	v_or3_b32 v2, s4, v0, s5
	s_delay_alu instid0(VALU_DEP_1) | instskip(NEXT) | instid1(VALU_DEP_1)
	.loc	1 13 24 is_stmt 1               ; dropout.py:13:24
	v_ashrrev_i32_e32 v3, 31, v2
	v_lshlrev_b64_e32 v[0:1], 2, v[2:3]
	.loc	1 12 21                         ; dropout.py:12:21
	s_wait_kmcnt 0x0
	v_cmp_gt_i32_e32 vcc_lo, s12, v2
	s_delay_alu instid0(VALU_DEP_2) | instskip(SKIP_1) | instid1(VALU_DEP_3)
	.loc	1 13 24                         ; dropout.py:13:24
	v_add_co_u32 v3, s2, s2, v0
	s_wait_alu depctr_va_sdst(0)
	v_add_co_ci_u32_e64 v4, null, s3, v1, s2
	.loc	1 13 16 is_stmt 0               ; dropout.py:13:16
	s_and_saveexec_b32 s2, vcc_lo
	s_cbranch_execz .LBB0_2
; %bb.1:
	global_load_b32 v19, v[3:4], off
.LBB0_2:
	.loc	1 0 16                          ; dropout.py:0:16
	s_wait_alu depctr_sa_sdst(0)
	s_or_b32 exec_lo, exec_lo, s2
	.loc	1 11 28 is_stmt 1               ; dropout.py:11:28
	v_or_b32_e32 v18, 0x80, v2
	s_delay_alu instid0(VALU_DEP_1)
	.loc	1 12 21                         ; dropout.py:12:21
	v_cmp_gt_i32_e64 s7, s12, v18
	.loc	1 13 16                         ; dropout.py:13:16
	s_and_saveexec_b32 s2, s7
	s_cbranch_execz .LBB0_4
; %bb.3:
	global_load_b32 v16, v[3:4], off offset:512
.LBB0_4:
	.loc	1 0 16 is_stmt 0                ; dropout.py:0:16
	s_wait_alu depctr_sa_sdst(0)
	s_or_b32 exec_lo, exec_lo, s2
	.loc	1 11 28 is_stmt 1               ; dropout.py:11:28
	v_or_b32_e32 v17, 0x100, v2
	v_dual_mov_b32 v12, 0 :: v_dual_mov_b32 v15, 0
	s_delay_alu instid0(VALU_DEP_2)
	.loc	1 12 21                         ; dropout.py:12:21
	v_cmp_gt_i32_e64 s6, s12, v17
	.loc	1 13 16                         ; dropout.py:13:16
	s_and_saveexec_b32 s2, s6
	s_cbranch_execz .LBB0_6
; %bb.5:
	global_load_b32 v15, v[3:4], off offset:1024
.LBB0_6:
	.loc	1 0 16 is_stmt 0                ; dropout.py:0:16
	s_wait_alu depctr_sa_sdst(0)
	s_or_b32 exec_lo, exec_lo, s2
	.loc	1 11 28 is_stmt 1               ; dropout.py:11:28
	v_or_b32_e32 v14, 0x180, v2
	s_delay_alu instid0(VALU_DEP_1)
	.loc	1 12 21                         ; dropout.py:12:21
	v_cmp_gt_i32_e64 s5, s12, v14
	.loc	1 13 16                         ; dropout.py:13:16
	s_and_saveexec_b32 s2, s5
	s_cbranch_execz .LBB0_8
; %bb.7:
	global_load_b32 v12, v[3:4], off offset:1536
.LBB0_8:
	.loc	1 0 16 is_stmt 0                ; dropout.py:0:16
	s_wait_alu depctr_sa_sdst(0)
	s_or_b32 exec_lo, exec_lo, s2
	.loc	1 11 28 is_stmt 1               ; dropout.py:11:28
	v_or_b32_e32 v13, 0x200, v2
	v_dual_mov_b32 v8, 0 :: v_dual_mov_b32 v11, 0
	s_delay_alu instid0(VALU_DEP_2)
	.loc	1 12 21                         ; dropout.py:12:21
	v_cmp_gt_i32_e64 s4, s12, v13
	.loc	1 13 16                         ; dropout.py:13:16
	s_and_saveexec_b32 s2, s4
	s_cbranch_execz .LBB0_10
; %bb.9:
	global_load_b32 v11, v[3:4], off offset:2048
.LBB0_10:
	.loc	1 0 16 is_stmt 0                ; dropout.py:0:16
	s_wait_alu depctr_sa_sdst(0)
	s_or_b32 exec_lo, exec_lo, s2
	.loc	1 11 28 is_stmt 1               ; dropout.py:11:28
	v_or_b32_e32 v10, 0x280, v2
	s_delay_alu instid0(VALU_DEP_1)
	.loc	1 12 21                         ; dropout.py:12:21
	v_cmp_gt_i32_e64 s3, s12, v10
	.loc	1 13 16                         ; dropout.py:13:16
	s_and_saveexec_b32 s2, s3
	s_cbranch_execz .LBB0_12
; %bb.11:
	global_load_b32 v8, v[3:4], off offset:2560
.LBB0_12:
	.loc	1 0 16 is_stmt 0                ; dropout.py:0:16
	s_wait_alu depctr_sa_sdst(0)
	s_or_b32 exec_lo, exec_lo, s2
	s_load_b64 s[10:11], s[0:1], 0x8
	.loc	1 11 28 is_stmt 1               ; dropout.py:11:28
	v_or_b32_e32 v9, 0x300, v2
	v_mov_b32_e32 v5, 0
	v_mov_b32_e32 v7, 0
	s_delay_alu instid0(VALU_DEP_3)
	.loc	1 12 21                         ; dropout.py:12:21
	v_cmp_gt_i32_e64 s2, s12, v9
	.loc	1 13 16                         ; dropout.py:13:16
	s_and_saveexec_b32 s8, s2
	s_cbranch_execz .LBB0_14
; %bb.13:
	global_load_b32 v7, v[3:4], off offset:3072
.LBB0_14:
	.loc	1 0 16 is_stmt 0                ; dropout.py:0:16
	s_or_b32 exec_lo, exec_lo, s8
	s_load_b64 s[8:9], s[0:1], 0x14
	.loc	1 11 28 is_stmt 1               ; dropout.py:11:28
	v_or_b32_e32 v6, 0x380, v2
	s_delay_alu instid0(VALU_DEP_1)
	.loc	1 12 21                         ; dropout.py:12:21
	v_cmp_gt_i32_e64 s0, s12, v6
	.loc	1 13 16                         ; dropout.py:13:16
	s_and_saveexec_b32 s1, s0
	s_cbranch_execz .LBB0_16
; %bb.15:
	global_load_b32 v5, v[3:4], off offset:3584
.LBB0_16:
	.loc	1 0 16 is_stmt 0                ; dropout.py:0:16
	s_or_b32 exec_lo, exec_lo, s1
	.loc	1 17 26 is_stmt 1               ; dropout.py:17:26
	s_wait_kmcnt 0x0
	v_add_co_u32 v0, s1, s10, v0
	s_delay_alu instid0(VALU_DEP_1)
	v_add_co_ci_u32_e64 v1, null, s11, v1, s1
.Ltmp0:
	.file	2 "/root/.local/lib/python3.13/site-packages/triton/language" "random.py"
	.loc	2 57 49                         ; random.py:57:49 @[ random.py:110:54 @[ random.py:84:43 @[ random.py:155:35 @[ dropout.py:14:27 ] ] ] ]
	s_ashr_i32 s28, s9, 31
.Ltmp1:
	.loc	1 16 39                         ; dropout.py:16:39
	s_sub_f32 s1, 1.0, s8
.Ltmp2:
	.loc	2 40 24                         ; random.py:40:24 @[ random.py:69:57 @[ random.py:110:54 @[ random.py:84:43 @[ random.py:155:35 @[ dropout.py:14:27 ] ] ] ] ]
	s_add_co_i32 s27, s9, 0x9e3779b9
	.loc	2 41 24                         ; random.py:41:24 @[ random.py:69:57 @[ random.py:110:54 @[ random.py:84:43 @[ random.py:155:35 @[ dropout.py:14:27 ] ] ] ] ]
	s_add_co_i32 s23, s28, 0xbb67ae85
	.loc	2 36 28                         ; random.py:36:28 @[ random.py:69:57 @[ random.py:110:54 @[ random.py:84:43 @[ random.py:155:35 @[ dropout.py:14:27 ] ] ] ] ]
	s_mul_hi_u32 s24, s9, 0xd2511f53
	.loc	2 38 23                         ; random.py:38:23 @[ random.py:69:57 @[ random.py:110:54 @[ random.py:84:43 @[ random.py:155:35 @[ dropout.py:14:27 ] ] ] ] ]
	s_mul_i32 s25, s9, 0xd2511f53
	.loc	2 40 24                         ; random.py:40:24 @[ random.py:69:57 @[ random.py:110:54 @[ random.py:84:43 @[ random.py:155:35 @[ dropout.py:14:27 ] ] ] ] ]
	s_add_co_i32 s21, s9, 0x3c6ef372
	.loc	2 41 24                         ; random.py:41:24 @[ random.py:69:57 @[ random.py:110:54 @[ random.py:84:43 @[ random.py:155:35 @[ dropout.py:14:27 ] ] ] ] ]
	s_add_co_i32 s26, s28, 0x76cf5d0a
	;; [unrolled: 2-line block ×12, first 2 shown]
	s_add_co_i32 s10, s28, 0xdb3d7428
	.loc	2 40 24                         ; random.py:40:24 @[ random.py:69:57 @[ random.py:110:54 @[ random.py:84:43 @[ random.py:155:35 @[ dropout.py:14:27 ] ] ] ] ]
	s_add_co_i32 s9, s9, 0x8ff34781
.Ltmp3:
	.loc	1 17 35                         ; dropout.py:17:35
	s_and_saveexec_b32 s11, vcc_lo
	s_cbranch_execnz .LBB0_25
; %bb.17:
	.loc	1 0 35 is_stmt 0                ; dropout.py:0:35
	s_wait_alu depctr_sa_sdst(0)
	s_or_b32 exec_lo, exec_lo, s11
	.loc	1 17 35                         ; dropout.py:17:35
	s_and_saveexec_b32 s11, s7
	s_cbranch_execnz .LBB0_26
.LBB0_18:
	.loc	1 0 35                          ; dropout.py:0:35
	s_wait_alu depctr_sa_sdst(0)
	s_or_b32 exec_lo, exec_lo, s11
	.loc	1 17 35                         ; dropout.py:17:35
	s_and_saveexec_b32 s7, s6
	s_cbranch_execnz .LBB0_27
.LBB0_19:
	.loc	1 0 35                          ; dropout.py:0:35
	s_or_b32 exec_lo, exec_lo, s7
	.loc	1 17 35                         ; dropout.py:17:35
	s_and_saveexec_b32 s6, s5
	s_cbranch_execnz .LBB0_28
.LBB0_20:
	.loc	1 0 35                          ; dropout.py:0:35
	s_or_b32 exec_lo, exec_lo, s6
	.loc	1 17 35                         ; dropout.py:17:35
	s_and_saveexec_b32 s5, s4
	s_cbranch_execnz .LBB0_29
.LBB0_21:
	.loc	1 0 35                          ; dropout.py:0:35
	s_wait_alu depctr_sa_sdst(0)
	s_or_b32 exec_lo, exec_lo, s5
	.loc	1 17 35                         ; dropout.py:17:35
	s_and_saveexec_b32 s4, s3
	s_cbranch_execnz .LBB0_30
.LBB0_22:
	.loc	1 0 35                          ; dropout.py:0:35
	s_wait_alu depctr_sa_sdst(0)
	s_or_b32 exec_lo, exec_lo, s4
	.loc	1 17 35                         ; dropout.py:17:35
	s_and_saveexec_b32 s3, s2
	s_cbranch_execnz .LBB0_31
.LBB0_23:
	.loc	1 0 35                          ; dropout.py:0:35
	s_wait_alu depctr_sa_sdst(0)
	s_or_b32 exec_lo, exec_lo, s3
	.loc	1 17 35                         ; dropout.py:17:35
	s_and_saveexec_b32 s2, s0
	s_cbranch_execnz .LBB0_32
.LBB0_24:
	.loc	1 17 4                          ; dropout.py:17:4
	s_endpgm
.LBB0_25:
.Ltmp4:
	.loc	2 36 28 is_stmt 1               ; random.py:36:28 @[ random.py:69:57 @[ random.py:110:54 @[ random.py:84:43 @[ random.py:155:35 @[ dropout.py:14:27 ] ] ] ] ]
	v_mul_hi_u32 v3, 0xd2511f53, v2
	.loc	2 38 23                         ; random.py:38:23 @[ random.py:69:57 @[ random.py:110:54 @[ random.py:84:43 @[ random.py:155:35 @[ dropout.py:14:27 ] ] ] ] ]
	v_mul_lo_u32 v2, 0xd2511f53, v2
	s_delay_alu instid0(VALU_DEP_2) | instskip(NEXT) | instid1(VALU_DEP_2)
	.loc	2 36 40                         ; random.py:36:40 @[ random.py:69:57 @[ random.py:110:54 @[ random.py:84:43 @[ random.py:155:35 @[ dropout.py:14:27 ] ] ] ] ]
	v_xor_b32_e32 v3, s28, v3
	v_xor3_b32 v2, s23, s24, v2
	s_delay_alu instid0(VALU_DEP_2) | instskip(NEXT) | instid1(VALU_DEP_2)
	.loc	2 35 28                         ; random.py:35:28 @[ random.py:69:57 @[ random.py:110:54 @[ random.py:84:43 @[ random.py:155:35 @[ dropout.py:14:27 ] ] ] ] ]
	v_mul_hi_u32 v4, 0xcd9e8d57, v3
	v_mul_hi_u32 v21, 0xcd9e8d57, v2
	.loc	2 37 23                         ; random.py:37:23 @[ random.py:69:57 @[ random.py:110:54 @[ random.py:84:43 @[ random.py:155:35 @[ dropout.py:14:27 ] ] ] ] ]
	v_mul_lo_u32 v3, 0xcd9e8d57, v3
	v_mul_lo_u32 v2, 0xcd9e8d57, v2
	s_delay_alu instid0(VALU_DEP_4) | instskip(NEXT) | instid1(VALU_DEP_3)
	.loc	2 35 40                         ; random.py:35:40 @[ random.py:69:57 @[ random.py:110:54 @[ random.py:84:43 @[ random.py:155:35 @[ dropout.py:14:27 ] ] ] ] ]
	v_xor_b32_e32 v4, s27, v4
	v_xor3_b32 v3, v3, v21, s21
	s_delay_alu instid0(VALU_DEP_2) | instskip(SKIP_1) | instid1(VALU_DEP_3)
	.loc	2 36 28                         ; random.py:36:28 @[ random.py:69:57 @[ random.py:110:54 @[ random.py:84:43 @[ random.py:155:35 @[ dropout.py:14:27 ] ] ] ] ]
	v_mul_hi_u32 v20, 0xd2511f53, v4
	.loc	2 38 23                         ; random.py:38:23 @[ random.py:69:57 @[ random.py:110:54 @[ random.py:84:43 @[ random.py:155:35 @[ dropout.py:14:27 ] ] ] ] ]
	v_mul_lo_u32 v4, 0xd2511f53, v4
	.loc	2 36 28                         ; random.py:36:28 @[ random.py:69:57 @[ random.py:110:54 @[ random.py:84:43 @[ random.py:155:35 @[ dropout.py:14:27 ] ] ] ] ]
	v_mul_hi_u32 v21, 0xd2511f53, v3
	.loc	2 38 23                         ; random.py:38:23 @[ random.py:69:57 @[ random.py:110:54 @[ random.py:84:43 @[ random.py:155:35 @[ dropout.py:14:27 ] ] ] ] ]
	v_mul_lo_u32 v3, 0xd2511f53, v3
	s_delay_alu instid0(VALU_DEP_4) | instskip(NEXT) | instid1(VALU_DEP_3)
	.loc	2 36 40                         ; random.py:36:40 @[ random.py:69:57 @[ random.py:110:54 @[ random.py:84:43 @[ random.py:155:35 @[ dropout.py:14:27 ] ] ] ] ]
	v_xor3_b32 v20, s26, s25, v20
	v_xor3_b32 v4, v4, v21, s19
	s_delay_alu instid0(VALU_DEP_2) | instskip(SKIP_1) | instid1(VALU_DEP_3)
	.loc	2 35 28                         ; random.py:35:28 @[ random.py:69:57 @[ random.py:110:54 @[ random.py:84:43 @[ random.py:155:35 @[ dropout.py:14:27 ] ] ] ] ]
	v_mul_hi_u32 v22, 0xcd9e8d57, v20
	.loc	2 37 23                         ; random.py:37:23 @[ random.py:69:57 @[ random.py:110:54 @[ random.py:84:43 @[ random.py:155:35 @[ dropout.py:14:27 ] ] ] ] ]
	v_mul_lo_u32 v20, 0xcd9e8d57, v20
	.loc	2 35 28                         ; random.py:35:28 @[ random.py:69:57 @[ random.py:110:54 @[ random.py:84:43 @[ random.py:155:35 @[ dropout.py:14:27 ] ] ] ] ]
	v_mul_hi_u32 v21, 0xcd9e8d57, v4
	.loc	2 37 23                         ; random.py:37:23 @[ random.py:69:57 @[ random.py:110:54 @[ random.py:84:43 @[ random.py:155:35 @[ dropout.py:14:27 ] ] ] ] ]
	v_mul_lo_u32 v4, 0xcd9e8d57, v4
	s_delay_alu instid0(VALU_DEP_4) | instskip(NEXT) | instid1(VALU_DEP_3)
	.loc	2 35 40                         ; random.py:35:40 @[ random.py:69:57 @[ random.py:110:54 @[ random.py:84:43 @[ random.py:155:35 @[ dropout.py:14:27 ] ] ] ] ]
	v_xor3_b32 v2, v2, v22, s22
	v_xor3_b32 v20, v20, v21, s17
	s_delay_alu instid0(VALU_DEP_2) | instskip(SKIP_1) | instid1(VALU_DEP_3)
	.loc	2 36 28                         ; random.py:36:28 @[ random.py:69:57 @[ random.py:110:54 @[ random.py:84:43 @[ random.py:155:35 @[ dropout.py:14:27 ] ] ] ] ]
	v_mul_hi_u32 v22, 0xd2511f53, v2
	.loc	2 38 23                         ; random.py:38:23 @[ random.py:69:57 @[ random.py:110:54 @[ random.py:84:43 @[ random.py:155:35 @[ dropout.py:14:27 ] ] ] ] ]
	v_mul_lo_u32 v2, 0xd2511f53, v2
	.loc	2 36 28                         ; random.py:36:28 @[ random.py:69:57 @[ random.py:110:54 @[ random.py:84:43 @[ random.py:155:35 @[ dropout.py:14:27 ] ] ] ] ]
	v_mul_hi_u32 v21, 0xd2511f53, v20
	.loc	2 38 23                         ; random.py:38:23 @[ random.py:69:57 @[ random.py:110:54 @[ random.py:84:43 @[ random.py:155:35 @[ dropout.py:14:27 ] ] ] ] ]
	v_mul_lo_u32 v20, 0xd2511f53, v20
	s_delay_alu instid0(VALU_DEP_4) | instskip(NEXT) | instid1(VALU_DEP_3)
	.loc	2 36 40                         ; random.py:36:40 @[ random.py:69:57 @[ random.py:110:54 @[ random.py:84:43 @[ random.py:155:35 @[ dropout.py:14:27 ] ] ] ] ]
	v_xor3_b32 v3, v3, v22, s20
	v_xor3_b32 v2, v2, v21, s15
	s_delay_alu instid0(VALU_DEP_2) | instskip(SKIP_1) | instid1(VALU_DEP_3)
	.loc	2 35 28                         ; random.py:35:28 @[ random.py:69:57 @[ random.py:110:54 @[ random.py:84:43 @[ random.py:155:35 @[ dropout.py:14:27 ] ] ] ] ]
	v_mul_hi_u32 v22, 0xcd9e8d57, v3
	.loc	2 37 23                         ; random.py:37:23 @[ random.py:69:57 @[ random.py:110:54 @[ random.py:84:43 @[ random.py:155:35 @[ dropout.py:14:27 ] ] ] ] ]
	v_mul_lo_u32 v3, 0xcd9e8d57, v3
	.loc	2 35 28                         ; random.py:35:28 @[ random.py:69:57 @[ random.py:110:54 @[ random.py:84:43 @[ random.py:155:35 @[ dropout.py:14:27 ] ] ] ] ]
	v_mul_hi_u32 v21, 0xcd9e8d57, v2
	.loc	2 37 23                         ; random.py:37:23 @[ random.py:69:57 @[ random.py:110:54 @[ random.py:84:43 @[ random.py:155:35 @[ dropout.py:14:27 ] ] ] ] ]
	v_mul_lo_u32 v2, 0xcd9e8d57, v2
	s_delay_alu instid0(VALU_DEP_4) | instskip(SKIP_1) | instid1(VALU_DEP_3)
	.loc	2 35 40                         ; random.py:35:40 @[ random.py:69:57 @[ random.py:110:54 @[ random.py:84:43 @[ random.py:155:35 @[ dropout.py:14:27 ] ] ] ] ]
	v_xor3_b32 v4, v4, v22, s18
	s_wait_alu depctr_sa_sdst(0)
	v_xor3_b32 v3, v3, v21, s13
	s_delay_alu instid0(VALU_DEP_2) | instskip(SKIP_1) | instid1(VALU_DEP_3)
	.loc	2 36 28                         ; random.py:36:28 @[ random.py:69:57 @[ random.py:110:54 @[ random.py:84:43 @[ random.py:155:35 @[ dropout.py:14:27 ] ] ] ] ]
	v_mul_hi_u32 v22, 0xd2511f53, v4
	.loc	2 38 23                         ; random.py:38:23 @[ random.py:69:57 @[ random.py:110:54 @[ random.py:84:43 @[ random.py:155:35 @[ dropout.py:14:27 ] ] ] ] ]
	v_mul_lo_u32 v4, 0xd2511f53, v4
	v_mul_lo_u32 v21, 0xd2511f53, v3
	.loc	2 36 28                         ; random.py:36:28 @[ random.py:69:57 @[ random.py:110:54 @[ random.py:84:43 @[ random.py:155:35 @[ dropout.py:14:27 ] ] ] ] ]
	v_mul_hi_u32 v3, 0xd2511f53, v3
	s_delay_alu instid0(VALU_DEP_4) | instskip(SKIP_2) | instid1(VALU_DEP_3)
	.loc	2 36 40 is_stmt 0               ; random.py:36:40 @[ random.py:69:57 @[ random.py:110:54 @[ random.py:84:43 @[ random.py:155:35 @[ dropout.py:14:27 ] ] ] ] ]
	v_xor3_b32 v20, v20, v22, s16
.Ltmp5:
	.loc	1 16 35 is_stmt 1               ; dropout.py:16:35
	s_wait_loadcnt 0x0
	v_div_scale_f32 v22, null, s1, s1, v19
.Ltmp6:
	.loc	2 36 40                         ; random.py:36:40 @[ random.py:69:57 @[ random.py:110:54 @[ random.py:84:43 @[ random.py:155:35 @[ dropout.py:14:27 ] ] ] ] ]
	v_xor3_b32 v3, v4, v3, s12
	s_delay_alu instid0(VALU_DEP_3) | instskip(NEXT) | instid1(VALU_DEP_2)
	.loc	2 35 28                         ; random.py:35:28 @[ random.py:69:57 @[ random.py:110:54 @[ random.py:84:43 @[ random.py:155:35 @[ dropout.py:14:27 ] ] ] ] ]
	v_mul_hi_u32 v20, 0xcd9e8d57, v20
	.loc	2 37 23                         ; random.py:37:23 @[ random.py:69:57 @[ random.py:110:54 @[ random.py:84:43 @[ random.py:155:35 @[ dropout.py:14:27 ] ] ] ] ]
	v_mul_lo_u32 v3, 0xcd9e8d57, v3
	s_delay_alu instid0(VALU_DEP_2) | instskip(SKIP_1) | instid1(VALU_DEP_1)
	.loc	2 35 40                         ; random.py:35:40 @[ random.py:69:57 @[ random.py:110:54 @[ random.py:84:43 @[ random.py:155:35 @[ dropout.py:14:27 ] ] ] ] ]
	v_xor3_b32 v2, v2, v20, s14
.Ltmp7:
	.loc	1 16 35                         ; dropout.py:16:35
	v_rcp_f32_e32 v20, v22
.Ltmp8:
	.loc	2 36 28                         ; random.py:36:28 @[ random.py:69:57 @[ random.py:110:54 @[ random.py:84:43 @[ random.py:155:35 @[ dropout.py:14:27 ] ] ] ] ]
	v_mul_hi_u32 v2, 0xd2511f53, v2
	s_delay_alu instid0(TRANS32_DEP_1) | instskip(NEXT) | instid1(VALU_DEP_2)
.Ltmp9:
	.loc	1 16 35                         ; dropout.py:16:35
	v_fma_f32 v4, -v22, v20, 1.0
.Ltmp10:
	.loc	2 36 40                         ; random.py:36:40 @[ random.py:69:57 @[ random.py:110:54 @[ random.py:84:43 @[ random.py:155:35 @[ dropout.py:14:27 ] ] ] ] ]
	v_xor3_b32 v2, v21, v2, s10
.Ltmp11:
	.loc	1 16 35                         ; dropout.py:16:35
	v_div_scale_f32 v21, vcc_lo, v19, s1, v19
	s_delay_alu instid0(VALU_DEP_3) | instskip(NEXT) | instid1(VALU_DEP_3)
	v_fmac_f32_e32 v20, v4, v20
.Ltmp12:
	.loc	2 35 28                         ; random.py:35:28 @[ random.py:69:57 @[ random.py:110:54 @[ random.py:84:43 @[ random.py:155:35 @[ dropout.py:14:27 ] ] ] ] ]
	v_mul_hi_u32 v2, 0xcd9e8d57, v2
	s_delay_alu instid0(VALU_DEP_2) | instskip(NEXT) | instid1(VALU_DEP_2)
.Ltmp13:
	.loc	1 16 35                         ; dropout.py:16:35
	v_mul_f32_e32 v4, v21, v20
.Ltmp14:
	.loc	2 35 40                         ; random.py:35:40 @[ random.py:69:57 @[ random.py:110:54 @[ random.py:84:43 @[ random.py:155:35 @[ dropout.py:14:27 ] ] ] ] ]
	v_xor3_b32 v2, v3, v2, s9
	s_delay_alu instid0(VALU_DEP_2) | instskip(NEXT) | instid1(VALU_DEP_2)
.Ltmp15:
	.loc	1 16 35                         ; dropout.py:16:35
	v_fma_f32 v3, -v22, v4, v21
.Ltmp16:
	.loc	2 142 32                        ; random.py:142:32 @[ random.py:156:33 @[ dropout.py:14:27 ] ]
	v_ashrrev_i32_e32 v23, 31, v2
	s_delay_alu instid0(VALU_DEP_2) | instskip(NEXT) | instid1(VALU_DEP_2)
.Ltmp17:
	.loc	1 16 35                         ; dropout.py:16:35
	v_fmac_f32_e32 v4, v3, v20
.Ltmp18:
	.loc	2 142 32                        ; random.py:142:32 @[ random.py:156:33 @[ dropout.py:14:27 ] ]
	v_xor_b32_e32 v2, v23, v2
	s_delay_alu instid0(VALU_DEP_2) | instskip(NEXT) | instid1(VALU_DEP_2)
.Ltmp19:
	.loc	1 16 35                         ; dropout.py:16:35
	v_fma_f32 v3, -v22, v4, v21
.Ltmp20:
	.loc	2 143 15                        ; random.py:143:15 @[ random.py:156:33 @[ dropout.py:14:27 ] ]
	v_cvt_f32_i32_e32 v2, v2
	s_delay_alu instid0(VALU_DEP_2) | instskip(NEXT) | instid1(VALU_DEP_2)
.Ltmp21:
	.loc	1 16 35                         ; dropout.py:16:35
	v_div_fmas_f32 v3, v3, v20, v4
.Ltmp22:
	.loc	2 143 15                        ; random.py:143:15 @[ random.py:156:33 @[ dropout.py:14:27 ] ]
	v_mul_f32_e32 v2, 0x2fffffff, v2
	s_delay_alu instid0(VALU_DEP_2) | instskip(NEXT) | instid1(VALU_DEP_2)
.Ltmp23:
	.loc	1 16 35                         ; dropout.py:16:35
	v_div_fixup_f32 v3, v3, s1, v19
	.loc	1 15 22                         ; dropout.py:15:22
	v_cmp_lt_f32_e32 vcc_lo, s8, v2
	.loc	1 16 43                         ; dropout.py:16:43
	s_wait_alu depctr_va_vcc(0)
	s_delay_alu instid0(VALU_DEP_2)
	v_cndmask_b32_e32 v2, 0, v3, vcc_lo
	.loc	1 17 35                         ; dropout.py:17:35
	global_store_b32 v[0:1], v2, off
	s_or_b32 exec_lo, exec_lo, s11
	s_and_saveexec_b32 s11, s7
	s_cbranch_execz .LBB0_18
.LBB0_26:
.Ltmp24:
	.loc	2 36 28                         ; random.py:36:28 @[ random.py:69:57 @[ random.py:110:54 @[ random.py:84:43 @[ random.py:155:35 @[ dropout.py:14:27 ] ] ] ] ]
	v_mul_hi_u32 v2, 0xd2511f53, v18
	.loc	2 38 23                         ; random.py:38:23 @[ random.py:69:57 @[ random.py:110:54 @[ random.py:84:43 @[ random.py:155:35 @[ dropout.py:14:27 ] ] ] ] ]
	v_mul_lo_u32 v4, 0xd2511f53, v18
	s_delay_alu instid0(VALU_DEP_2) | instskip(NEXT) | instid1(VALU_DEP_2)
	.loc	2 36 40                         ; random.py:36:40 @[ random.py:69:57 @[ random.py:110:54 @[ random.py:84:43 @[ random.py:155:35 @[ dropout.py:14:27 ] ] ] ] ]
	v_xor_b32_e32 v2, s28, v2
	v_xor3_b32 v4, s23, s24, v4
	s_delay_alu instid0(VALU_DEP_2) | instskip(SKIP_2) | instid1(VALU_DEP_3)
	.loc	2 35 28                         ; random.py:35:28 @[ random.py:69:57 @[ random.py:110:54 @[ random.py:84:43 @[ random.py:155:35 @[ dropout.py:14:27 ] ] ] ] ]
	v_mul_hi_u32 v3, 0xcd9e8d57, v2
	.loc	2 37 23                         ; random.py:37:23 @[ random.py:69:57 @[ random.py:110:54 @[ random.py:84:43 @[ random.py:155:35 @[ dropout.py:14:27 ] ] ] ] ]
	v_mul_lo_u32 v2, 0xcd9e8d57, v2
	.loc	2 35 28                         ; random.py:35:28 @[ random.py:69:57 @[ random.py:110:54 @[ random.py:84:43 @[ random.py:155:35 @[ dropout.py:14:27 ] ] ] ] ]
	s_wait_loadcnt 0x0
	v_mul_hi_u32 v19, 0xcd9e8d57, v4
	.loc	2 37 23                         ; random.py:37:23 @[ random.py:69:57 @[ random.py:110:54 @[ random.py:84:43 @[ random.py:155:35 @[ dropout.py:14:27 ] ] ] ] ]
	v_mul_lo_u32 v4, 0xcd9e8d57, v4
	s_delay_alu instid0(VALU_DEP_4) | instskip(NEXT) | instid1(VALU_DEP_3)
	.loc	2 35 40                         ; random.py:35:40 @[ random.py:69:57 @[ random.py:110:54 @[ random.py:84:43 @[ random.py:155:35 @[ dropout.py:14:27 ] ] ] ] ]
	v_xor_b32_e32 v3, s27, v3
	v_xor3_b32 v2, v2, v19, s21
	s_delay_alu instid0(VALU_DEP_2) | instskip(SKIP_1) | instid1(VALU_DEP_3)
	.loc	2 36 28                         ; random.py:36:28 @[ random.py:69:57 @[ random.py:110:54 @[ random.py:84:43 @[ random.py:155:35 @[ dropout.py:14:27 ] ] ] ] ]
	v_mul_hi_u32 v18, 0xd2511f53, v3
	.loc	2 38 23                         ; random.py:38:23 @[ random.py:69:57 @[ random.py:110:54 @[ random.py:84:43 @[ random.py:155:35 @[ dropout.py:14:27 ] ] ] ] ]
	v_mul_lo_u32 v3, 0xd2511f53, v3
	.loc	2 36 28                         ; random.py:36:28 @[ random.py:69:57 @[ random.py:110:54 @[ random.py:84:43 @[ random.py:155:35 @[ dropout.py:14:27 ] ] ] ] ]
	v_mul_hi_u32 v19, 0xd2511f53, v2
	.loc	2 38 23                         ; random.py:38:23 @[ random.py:69:57 @[ random.py:110:54 @[ random.py:84:43 @[ random.py:155:35 @[ dropout.py:14:27 ] ] ] ] ]
	v_mul_lo_u32 v2, 0xd2511f53, v2
	s_delay_alu instid0(VALU_DEP_4) | instskip(NEXT) | instid1(VALU_DEP_3)
	.loc	2 36 40                         ; random.py:36:40 @[ random.py:69:57 @[ random.py:110:54 @[ random.py:84:43 @[ random.py:155:35 @[ dropout.py:14:27 ] ] ] ] ]
	v_xor3_b32 v18, s26, s25, v18
	v_xor3_b32 v3, v3, v19, s19
	s_delay_alu instid0(VALU_DEP_2) | instskip(SKIP_1) | instid1(VALU_DEP_3)
	.loc	2 35 28                         ; random.py:35:28 @[ random.py:69:57 @[ random.py:110:54 @[ random.py:84:43 @[ random.py:155:35 @[ dropout.py:14:27 ] ] ] ] ]
	v_mul_hi_u32 v20, 0xcd9e8d57, v18
	.loc	2 37 23                         ; random.py:37:23 @[ random.py:69:57 @[ random.py:110:54 @[ random.py:84:43 @[ random.py:155:35 @[ dropout.py:14:27 ] ] ] ] ]
	v_mul_lo_u32 v18, 0xcd9e8d57, v18
	.loc	2 35 28                         ; random.py:35:28 @[ random.py:69:57 @[ random.py:110:54 @[ random.py:84:43 @[ random.py:155:35 @[ dropout.py:14:27 ] ] ] ] ]
	v_mul_hi_u32 v19, 0xcd9e8d57, v3
	.loc	2 37 23                         ; random.py:37:23 @[ random.py:69:57 @[ random.py:110:54 @[ random.py:84:43 @[ random.py:155:35 @[ dropout.py:14:27 ] ] ] ] ]
	v_mul_lo_u32 v3, 0xcd9e8d57, v3
	s_delay_alu instid0(VALU_DEP_4) | instskip(NEXT) | instid1(VALU_DEP_3)
	.loc	2 35 40                         ; random.py:35:40 @[ random.py:69:57 @[ random.py:110:54 @[ random.py:84:43 @[ random.py:155:35 @[ dropout.py:14:27 ] ] ] ] ]
	v_xor3_b32 v4, v4, v20, s22
	;; [unrolled: 13-line block ×4, first 2 shown]
	v_xor3_b32 v2, v2, v19, s13
	s_delay_alu instid0(VALU_DEP_2) | instskip(SKIP_1) | instid1(VALU_DEP_3)
	.loc	2 36 28                         ; random.py:36:28 @[ random.py:69:57 @[ random.py:110:54 @[ random.py:84:43 @[ random.py:155:35 @[ dropout.py:14:27 ] ] ] ] ]
	v_mul_hi_u32 v20, 0xd2511f53, v3
	.loc	2 38 23                         ; random.py:38:23 @[ random.py:69:57 @[ random.py:110:54 @[ random.py:84:43 @[ random.py:155:35 @[ dropout.py:14:27 ] ] ] ] ]
	v_mul_lo_u32 v3, 0xd2511f53, v3
	.loc	2 36 28                         ; random.py:36:28 @[ random.py:69:57 @[ random.py:110:54 @[ random.py:84:43 @[ random.py:155:35 @[ dropout.py:14:27 ] ] ] ] ]
	v_mul_hi_u32 v19, 0xd2511f53, v2
	.loc	2 38 23                         ; random.py:38:23 @[ random.py:69:57 @[ random.py:110:54 @[ random.py:84:43 @[ random.py:155:35 @[ dropout.py:14:27 ] ] ] ] ]
	v_mul_lo_u32 v2, 0xd2511f53, v2
	s_delay_alu instid0(VALU_DEP_4) | instskip(SKIP_1) | instid1(VALU_DEP_4)
	.loc	2 36 40                         ; random.py:36:40 @[ random.py:69:57 @[ random.py:110:54 @[ random.py:84:43 @[ random.py:155:35 @[ dropout.py:14:27 ] ] ] ] ]
	v_xor3_b32 v18, v18, v20, s16
.Ltmp25:
	.loc	1 16 35                         ; dropout.py:16:35
	v_div_scale_f32 v20, null, s1, s1, v16
.Ltmp26:
	.loc	2 36 40                         ; random.py:36:40 @[ random.py:69:57 @[ random.py:110:54 @[ random.py:84:43 @[ random.py:155:35 @[ dropout.py:14:27 ] ] ] ] ]
	v_xor3_b32 v3, v3, v19, s12
.Ltmp27:
	.loc	1 16 35                         ; dropout.py:16:35
	v_div_scale_f32 v19, vcc_lo, v16, s1, v16
	s_delay_alu instid0(VALU_DEP_4) | instskip(NEXT) | instid1(VALU_DEP_3)
.Ltmp28:
	.loc	2 35 28                         ; random.py:35:28 @[ random.py:69:57 @[ random.py:110:54 @[ random.py:84:43 @[ random.py:155:35 @[ dropout.py:14:27 ] ] ] ] ]
	v_mul_hi_u32 v18, 0xcd9e8d57, v18
	.loc	2 37 23                         ; random.py:37:23 @[ random.py:69:57 @[ random.py:110:54 @[ random.py:84:43 @[ random.py:155:35 @[ dropout.py:14:27 ] ] ] ] ]
	v_mul_lo_u32 v3, 0xcd9e8d57, v3
	s_delay_alu instid0(VALU_DEP_2) | instskip(SKIP_1) | instid1(VALU_DEP_1)
	.loc	2 35 40                         ; random.py:35:40 @[ random.py:69:57 @[ random.py:110:54 @[ random.py:84:43 @[ random.py:155:35 @[ dropout.py:14:27 ] ] ] ] ]
	v_xor3_b32 v4, v4, v18, s14
.Ltmp29:
	.loc	1 16 35                         ; dropout.py:16:35
	v_rcp_f32_e32 v18, v20
.Ltmp30:
	.loc	2 36 28                         ; random.py:36:28 @[ random.py:69:57 @[ random.py:110:54 @[ random.py:84:43 @[ random.py:155:35 @[ dropout.py:14:27 ] ] ] ] ]
	v_mul_hi_u32 v4, 0xd2511f53, v4
	s_delay_alu instid0(VALU_DEP_1) | instskip(NEXT) | instid1(TRANS32_DEP_1)
	.loc	2 36 40 is_stmt 0               ; random.py:36:40 @[ random.py:69:57 @[ random.py:110:54 @[ random.py:84:43 @[ random.py:155:35 @[ dropout.py:14:27 ] ] ] ] ]
	v_xor3_b32 v2, v2, v4, s10
.Ltmp31:
	.loc	1 16 35 is_stmt 1               ; dropout.py:16:35
	v_fma_f32 v4, -v20, v18, 1.0
	s_delay_alu instid0(VALU_DEP_2) | instskip(NEXT) | instid1(VALU_DEP_2)
.Ltmp32:
	.loc	2 35 28                         ; random.py:35:28 @[ random.py:69:57 @[ random.py:110:54 @[ random.py:84:43 @[ random.py:155:35 @[ dropout.py:14:27 ] ] ] ] ]
	v_mul_hi_u32 v2, 0xcd9e8d57, v2
.Ltmp33:
	.loc	1 16 35                         ; dropout.py:16:35
	v_fmac_f32_e32 v18, v4, v18
	s_delay_alu instid0(VALU_DEP_1) | instskip(NEXT) | instid1(VALU_DEP_3)
	v_mul_f32_e32 v4, v19, v18
.Ltmp34:
	.loc	2 35 40                         ; random.py:35:40 @[ random.py:69:57 @[ random.py:110:54 @[ random.py:84:43 @[ random.py:155:35 @[ dropout.py:14:27 ] ] ] ] ]
	v_xor3_b32 v2, v3, v2, s9
	s_delay_alu instid0(VALU_DEP_2) | instskip(NEXT) | instid1(VALU_DEP_2)
.Ltmp35:
	.loc	1 16 35                         ; dropout.py:16:35
	v_fma_f32 v3, -v20, v4, v19
.Ltmp36:
	.loc	2 142 32                        ; random.py:142:32 @[ random.py:156:33 @[ dropout.py:14:27 ] ]
	v_ashrrev_i32_e32 v21, 31, v2
	s_delay_alu instid0(VALU_DEP_2) | instskip(NEXT) | instid1(VALU_DEP_2)
.Ltmp37:
	.loc	1 16 35                         ; dropout.py:16:35
	v_fmac_f32_e32 v4, v3, v18
.Ltmp38:
	.loc	2 142 32                        ; random.py:142:32 @[ random.py:156:33 @[ dropout.py:14:27 ] ]
	v_xor_b32_e32 v2, v21, v2
	s_delay_alu instid0(VALU_DEP_2) | instskip(NEXT) | instid1(VALU_DEP_2)
.Ltmp39:
	.loc	1 16 35                         ; dropout.py:16:35
	v_fma_f32 v3, -v20, v4, v19
.Ltmp40:
	.loc	2 143 15                        ; random.py:143:15 @[ random.py:156:33 @[ dropout.py:14:27 ] ]
	v_cvt_f32_i32_e32 v2, v2
.Ltmp41:
	.loc	1 16 35                         ; dropout.py:16:35
	s_wait_alu depctr_va_vcc(0)
	s_delay_alu instid0(VALU_DEP_2) | instskip(NEXT) | instid1(VALU_DEP_2)
	v_div_fmas_f32 v3, v3, v18, v4
.Ltmp42:
	.loc	2 143 15                        ; random.py:143:15 @[ random.py:156:33 @[ dropout.py:14:27 ] ]
	v_mul_f32_e32 v2, 0x2fffffff, v2
	s_delay_alu instid0(VALU_DEP_2) | instskip(NEXT) | instid1(VALU_DEP_2)
.Ltmp43:
	.loc	1 16 35                         ; dropout.py:16:35
	v_div_fixup_f32 v3, v3, s1, v16
	.loc	1 15 22                         ; dropout.py:15:22
	v_cmp_lt_f32_e32 vcc_lo, s8, v2
	.loc	1 16 43                         ; dropout.py:16:43
	s_wait_alu depctr_va_vcc(0)
	s_delay_alu instid0(VALU_DEP_2)
	v_cndmask_b32_e32 v2, 0, v3, vcc_lo
	.loc	1 17 35                         ; dropout.py:17:35
	global_store_b32 v[0:1], v2, off offset:512
	s_wait_alu depctr_sa_sdst(0)
	s_or_b32 exec_lo, exec_lo, s11
	s_and_saveexec_b32 s7, s6
	s_cbranch_execz .LBB0_19
.LBB0_27:
.Ltmp44:
	.loc	2 36 28                         ; random.py:36:28 @[ random.py:69:57 @[ random.py:110:54 @[ random.py:84:43 @[ random.py:155:35 @[ dropout.py:14:27 ] ] ] ] ]
	v_mul_hi_u32 v2, 0xd2511f53, v17
	.loc	2 38 23                         ; random.py:38:23 @[ random.py:69:57 @[ random.py:110:54 @[ random.py:84:43 @[ random.py:155:35 @[ dropout.py:14:27 ] ] ] ] ]
	v_mul_lo_u32 v4, 0xd2511f53, v17
	s_delay_alu instid0(VALU_DEP_2) | instskip(NEXT) | instid1(VALU_DEP_2)
	.loc	2 36 40                         ; random.py:36:40 @[ random.py:69:57 @[ random.py:110:54 @[ random.py:84:43 @[ random.py:155:35 @[ dropout.py:14:27 ] ] ] ] ]
	v_xor_b32_e32 v2, s28, v2
	v_xor3_b32 v4, s23, s24, v4
	s_delay_alu instid0(VALU_DEP_2) | instskip(SKIP_1) | instid1(VALU_DEP_3)
	.loc	2 35 28                         ; random.py:35:28 @[ random.py:69:57 @[ random.py:110:54 @[ random.py:84:43 @[ random.py:155:35 @[ dropout.py:14:27 ] ] ] ] ]
	v_mul_hi_u32 v3, 0xcd9e8d57, v2
	.loc	2 37 23                         ; random.py:37:23 @[ random.py:69:57 @[ random.py:110:54 @[ random.py:84:43 @[ random.py:155:35 @[ dropout.py:14:27 ] ] ] ] ]
	v_mul_lo_u32 v2, 0xcd9e8d57, v2
	.loc	2 35 28                         ; random.py:35:28 @[ random.py:69:57 @[ random.py:110:54 @[ random.py:84:43 @[ random.py:155:35 @[ dropout.py:14:27 ] ] ] ] ]
	v_mul_hi_u32 v17, 0xcd9e8d57, v4
	.loc	2 37 23                         ; random.py:37:23 @[ random.py:69:57 @[ random.py:110:54 @[ random.py:84:43 @[ random.py:155:35 @[ dropout.py:14:27 ] ] ] ] ]
	v_mul_lo_u32 v4, 0xcd9e8d57, v4
	s_delay_alu instid0(VALU_DEP_4) | instskip(NEXT) | instid1(VALU_DEP_3)
	.loc	2 35 40                         ; random.py:35:40 @[ random.py:69:57 @[ random.py:110:54 @[ random.py:84:43 @[ random.py:155:35 @[ dropout.py:14:27 ] ] ] ] ]
	v_xor_b32_e32 v3, s27, v3
	v_xor3_b32 v2, v2, v17, s21
	.loc	2 36 28                         ; random.py:36:28 @[ random.py:69:57 @[ random.py:110:54 @[ random.py:84:43 @[ random.py:155:35 @[ dropout.py:14:27 ] ] ] ] ]
	s_wait_loadcnt 0x0
	s_delay_alu instid0(VALU_DEP_2) | instskip(SKIP_1) | instid1(VALU_DEP_3)
	v_mul_hi_u32 v16, 0xd2511f53, v3
	.loc	2 38 23                         ; random.py:38:23 @[ random.py:69:57 @[ random.py:110:54 @[ random.py:84:43 @[ random.py:155:35 @[ dropout.py:14:27 ] ] ] ] ]
	v_mul_lo_u32 v3, 0xd2511f53, v3
	.loc	2 36 28                         ; random.py:36:28 @[ random.py:69:57 @[ random.py:110:54 @[ random.py:84:43 @[ random.py:155:35 @[ dropout.py:14:27 ] ] ] ] ]
	v_mul_hi_u32 v17, 0xd2511f53, v2
	.loc	2 38 23                         ; random.py:38:23 @[ random.py:69:57 @[ random.py:110:54 @[ random.py:84:43 @[ random.py:155:35 @[ dropout.py:14:27 ] ] ] ] ]
	v_mul_lo_u32 v2, 0xd2511f53, v2
	s_delay_alu instid0(VALU_DEP_4) | instskip(NEXT) | instid1(VALU_DEP_3)
	.loc	2 36 40                         ; random.py:36:40 @[ random.py:69:57 @[ random.py:110:54 @[ random.py:84:43 @[ random.py:155:35 @[ dropout.py:14:27 ] ] ] ] ]
	v_xor3_b32 v16, s26, s25, v16
	v_xor3_b32 v3, v3, v17, s19
	s_delay_alu instid0(VALU_DEP_2) | instskip(SKIP_1) | instid1(VALU_DEP_3)
	.loc	2 35 28                         ; random.py:35:28 @[ random.py:69:57 @[ random.py:110:54 @[ random.py:84:43 @[ random.py:155:35 @[ dropout.py:14:27 ] ] ] ] ]
	v_mul_hi_u32 v18, 0xcd9e8d57, v16
	.loc	2 37 23                         ; random.py:37:23 @[ random.py:69:57 @[ random.py:110:54 @[ random.py:84:43 @[ random.py:155:35 @[ dropout.py:14:27 ] ] ] ] ]
	v_mul_lo_u32 v16, 0xcd9e8d57, v16
	.loc	2 35 28                         ; random.py:35:28 @[ random.py:69:57 @[ random.py:110:54 @[ random.py:84:43 @[ random.py:155:35 @[ dropout.py:14:27 ] ] ] ] ]
	v_mul_hi_u32 v17, 0xcd9e8d57, v3
	.loc	2 37 23                         ; random.py:37:23 @[ random.py:69:57 @[ random.py:110:54 @[ random.py:84:43 @[ random.py:155:35 @[ dropout.py:14:27 ] ] ] ] ]
	v_mul_lo_u32 v3, 0xcd9e8d57, v3
	s_delay_alu instid0(VALU_DEP_4) | instskip(NEXT) | instid1(VALU_DEP_3)
	.loc	2 35 40                         ; random.py:35:40 @[ random.py:69:57 @[ random.py:110:54 @[ random.py:84:43 @[ random.py:155:35 @[ dropout.py:14:27 ] ] ] ] ]
	v_xor3_b32 v4, v4, v18, s22
	v_xor3_b32 v16, v16, v17, s17
	s_delay_alu instid0(VALU_DEP_2) | instskip(SKIP_1) | instid1(VALU_DEP_3)
	.loc	2 36 28                         ; random.py:36:28 @[ random.py:69:57 @[ random.py:110:54 @[ random.py:84:43 @[ random.py:155:35 @[ dropout.py:14:27 ] ] ] ] ]
	;; [unrolled: 13-line block ×4, first 2 shown]
	v_mul_hi_u32 v18, 0xd2511f53, v3
	.loc	2 38 23                         ; random.py:38:23 @[ random.py:69:57 @[ random.py:110:54 @[ random.py:84:43 @[ random.py:155:35 @[ dropout.py:14:27 ] ] ] ] ]
	v_mul_lo_u32 v3, 0xd2511f53, v3
	.loc	2 36 28                         ; random.py:36:28 @[ random.py:69:57 @[ random.py:110:54 @[ random.py:84:43 @[ random.py:155:35 @[ dropout.py:14:27 ] ] ] ] ]
	v_mul_hi_u32 v17, 0xd2511f53, v2
	.loc	2 38 23                         ; random.py:38:23 @[ random.py:69:57 @[ random.py:110:54 @[ random.py:84:43 @[ random.py:155:35 @[ dropout.py:14:27 ] ] ] ] ]
	v_mul_lo_u32 v2, 0xd2511f53, v2
	s_delay_alu instid0(VALU_DEP_4) | instskip(SKIP_1) | instid1(VALU_DEP_4)
	.loc	2 36 40                         ; random.py:36:40 @[ random.py:69:57 @[ random.py:110:54 @[ random.py:84:43 @[ random.py:155:35 @[ dropout.py:14:27 ] ] ] ] ]
	v_xor3_b32 v16, v16, v18, s16
.Ltmp45:
	.loc	1 16 35                         ; dropout.py:16:35
	v_div_scale_f32 v18, null, s1, s1, v15
.Ltmp46:
	.loc	2 36 40                         ; random.py:36:40 @[ random.py:69:57 @[ random.py:110:54 @[ random.py:84:43 @[ random.py:155:35 @[ dropout.py:14:27 ] ] ] ] ]
	v_xor3_b32 v3, v3, v17, s12
.Ltmp47:
	.loc	1 16 35                         ; dropout.py:16:35
	v_div_scale_f32 v17, vcc_lo, v15, s1, v15
	s_delay_alu instid0(VALU_DEP_4) | instskip(NEXT) | instid1(VALU_DEP_3)
.Ltmp48:
	.loc	2 35 28                         ; random.py:35:28 @[ random.py:69:57 @[ random.py:110:54 @[ random.py:84:43 @[ random.py:155:35 @[ dropout.py:14:27 ] ] ] ] ]
	v_mul_hi_u32 v16, 0xcd9e8d57, v16
	.loc	2 37 23                         ; random.py:37:23 @[ random.py:69:57 @[ random.py:110:54 @[ random.py:84:43 @[ random.py:155:35 @[ dropout.py:14:27 ] ] ] ] ]
	v_mul_lo_u32 v3, 0xcd9e8d57, v3
	s_delay_alu instid0(VALU_DEP_2) | instskip(SKIP_1) | instid1(VALU_DEP_1)
	.loc	2 35 40                         ; random.py:35:40 @[ random.py:69:57 @[ random.py:110:54 @[ random.py:84:43 @[ random.py:155:35 @[ dropout.py:14:27 ] ] ] ] ]
	v_xor3_b32 v4, v4, v16, s14
.Ltmp49:
	.loc	1 16 35                         ; dropout.py:16:35
	v_rcp_f32_e32 v16, v18
.Ltmp50:
	.loc	2 36 28                         ; random.py:36:28 @[ random.py:69:57 @[ random.py:110:54 @[ random.py:84:43 @[ random.py:155:35 @[ dropout.py:14:27 ] ] ] ] ]
	v_mul_hi_u32 v4, 0xd2511f53, v4
	s_delay_alu instid0(VALU_DEP_1) | instskip(NEXT) | instid1(TRANS32_DEP_1)
	.loc	2 36 40 is_stmt 0               ; random.py:36:40 @[ random.py:69:57 @[ random.py:110:54 @[ random.py:84:43 @[ random.py:155:35 @[ dropout.py:14:27 ] ] ] ] ]
	v_xor3_b32 v2, v2, v4, s10
.Ltmp51:
	.loc	1 16 35 is_stmt 1               ; dropout.py:16:35
	v_fma_f32 v4, -v18, v16, 1.0
	s_delay_alu instid0(VALU_DEP_2) | instskip(NEXT) | instid1(VALU_DEP_2)
.Ltmp52:
	.loc	2 35 28                         ; random.py:35:28 @[ random.py:69:57 @[ random.py:110:54 @[ random.py:84:43 @[ random.py:155:35 @[ dropout.py:14:27 ] ] ] ] ]
	v_mul_hi_u32 v2, 0xcd9e8d57, v2
.Ltmp53:
	.loc	1 16 35                         ; dropout.py:16:35
	v_fmac_f32_e32 v16, v4, v16
	s_delay_alu instid0(VALU_DEP_1) | instskip(NEXT) | instid1(VALU_DEP_3)
	v_mul_f32_e32 v4, v17, v16
.Ltmp54:
	.loc	2 35 40                         ; random.py:35:40 @[ random.py:69:57 @[ random.py:110:54 @[ random.py:84:43 @[ random.py:155:35 @[ dropout.py:14:27 ] ] ] ] ]
	v_xor3_b32 v2, v3, v2, s9
	s_delay_alu instid0(VALU_DEP_2) | instskip(NEXT) | instid1(VALU_DEP_2)
.Ltmp55:
	.loc	1 16 35                         ; dropout.py:16:35
	v_fma_f32 v3, -v18, v4, v17
.Ltmp56:
	.loc	2 142 32                        ; random.py:142:32 @[ random.py:156:33 @[ dropout.py:14:27 ] ]
	v_ashrrev_i32_e32 v19, 31, v2
	s_delay_alu instid0(VALU_DEP_2) | instskip(NEXT) | instid1(VALU_DEP_2)
.Ltmp57:
	.loc	1 16 35                         ; dropout.py:16:35
	v_fmac_f32_e32 v4, v3, v16
.Ltmp58:
	.loc	2 142 32                        ; random.py:142:32 @[ random.py:156:33 @[ dropout.py:14:27 ] ]
	v_xor_b32_e32 v2, v19, v2
	s_delay_alu instid0(VALU_DEP_2) | instskip(NEXT) | instid1(VALU_DEP_2)
.Ltmp59:
	.loc	1 16 35                         ; dropout.py:16:35
	v_fma_f32 v3, -v18, v4, v17
.Ltmp60:
	.loc	2 143 15                        ; random.py:143:15 @[ random.py:156:33 @[ dropout.py:14:27 ] ]
	v_cvt_f32_i32_e32 v2, v2
.Ltmp61:
	.loc	1 16 35                         ; dropout.py:16:35
	s_wait_alu depctr_va_vcc(0)
	s_delay_alu instid0(VALU_DEP_2) | instskip(NEXT) | instid1(VALU_DEP_2)
	v_div_fmas_f32 v3, v3, v16, v4
.Ltmp62:
	.loc	2 143 15                        ; random.py:143:15 @[ random.py:156:33 @[ dropout.py:14:27 ] ]
	v_mul_f32_e32 v2, 0x2fffffff, v2
	s_delay_alu instid0(VALU_DEP_2) | instskip(NEXT) | instid1(VALU_DEP_2)
.Ltmp63:
	.loc	1 16 35                         ; dropout.py:16:35
	v_div_fixup_f32 v3, v3, s1, v15
	.loc	1 15 22                         ; dropout.py:15:22
	v_cmp_lt_f32_e32 vcc_lo, s8, v2
	.loc	1 16 43                         ; dropout.py:16:43
	s_wait_alu depctr_va_vcc(0)
	s_delay_alu instid0(VALU_DEP_2)
	v_cndmask_b32_e32 v2, 0, v3, vcc_lo
	.loc	1 17 35                         ; dropout.py:17:35
	global_store_b32 v[0:1], v2, off offset:1024
	s_or_b32 exec_lo, exec_lo, s7
	s_and_saveexec_b32 s6, s5
	s_cbranch_execz .LBB0_20
.LBB0_28:
.Ltmp64:
	.loc	2 36 28                         ; random.py:36:28 @[ random.py:69:57 @[ random.py:110:54 @[ random.py:84:43 @[ random.py:155:35 @[ dropout.py:14:27 ] ] ] ] ]
	v_mul_hi_u32 v2, 0xd2511f53, v14
	.loc	2 38 23                         ; random.py:38:23 @[ random.py:69:57 @[ random.py:110:54 @[ random.py:84:43 @[ random.py:155:35 @[ dropout.py:14:27 ] ] ] ] ]
	v_mul_lo_u32 v4, 0xd2511f53, v14
	s_delay_alu instid0(VALU_DEP_2) | instskip(NEXT) | instid1(VALU_DEP_2)
	.loc	2 36 40                         ; random.py:36:40 @[ random.py:69:57 @[ random.py:110:54 @[ random.py:84:43 @[ random.py:155:35 @[ dropout.py:14:27 ] ] ] ] ]
	v_xor_b32_e32 v2, s28, v2
	v_xor3_b32 v4, s23, s24, v4
	s_delay_alu instid0(VALU_DEP_2) | instskip(SKIP_2) | instid1(VALU_DEP_3)
	.loc	2 35 28                         ; random.py:35:28 @[ random.py:69:57 @[ random.py:110:54 @[ random.py:84:43 @[ random.py:155:35 @[ dropout.py:14:27 ] ] ] ] ]
	v_mul_hi_u32 v3, 0xcd9e8d57, v2
	.loc	2 37 23                         ; random.py:37:23 @[ random.py:69:57 @[ random.py:110:54 @[ random.py:84:43 @[ random.py:155:35 @[ dropout.py:14:27 ] ] ] ] ]
	v_mul_lo_u32 v2, 0xcd9e8d57, v2
	.loc	2 35 28                         ; random.py:35:28 @[ random.py:69:57 @[ random.py:110:54 @[ random.py:84:43 @[ random.py:155:35 @[ dropout.py:14:27 ] ] ] ] ]
	s_wait_loadcnt 0x0
	v_mul_hi_u32 v15, 0xcd9e8d57, v4
	.loc	2 37 23                         ; random.py:37:23 @[ random.py:69:57 @[ random.py:110:54 @[ random.py:84:43 @[ random.py:155:35 @[ dropout.py:14:27 ] ] ] ] ]
	v_mul_lo_u32 v4, 0xcd9e8d57, v4
	s_delay_alu instid0(VALU_DEP_4) | instskip(NEXT) | instid1(VALU_DEP_3)
	.loc	2 35 40                         ; random.py:35:40 @[ random.py:69:57 @[ random.py:110:54 @[ random.py:84:43 @[ random.py:155:35 @[ dropout.py:14:27 ] ] ] ] ]
	v_xor_b32_e32 v3, s27, v3
	v_xor3_b32 v2, v2, v15, s21
	s_delay_alu instid0(VALU_DEP_2) | instskip(SKIP_1) | instid1(VALU_DEP_3)
	.loc	2 36 28                         ; random.py:36:28 @[ random.py:69:57 @[ random.py:110:54 @[ random.py:84:43 @[ random.py:155:35 @[ dropout.py:14:27 ] ] ] ] ]
	v_mul_hi_u32 v14, 0xd2511f53, v3
	.loc	2 38 23                         ; random.py:38:23 @[ random.py:69:57 @[ random.py:110:54 @[ random.py:84:43 @[ random.py:155:35 @[ dropout.py:14:27 ] ] ] ] ]
	v_mul_lo_u32 v3, 0xd2511f53, v3
	.loc	2 36 28                         ; random.py:36:28 @[ random.py:69:57 @[ random.py:110:54 @[ random.py:84:43 @[ random.py:155:35 @[ dropout.py:14:27 ] ] ] ] ]
	v_mul_hi_u32 v15, 0xd2511f53, v2
	.loc	2 38 23                         ; random.py:38:23 @[ random.py:69:57 @[ random.py:110:54 @[ random.py:84:43 @[ random.py:155:35 @[ dropout.py:14:27 ] ] ] ] ]
	v_mul_lo_u32 v2, 0xd2511f53, v2
	s_delay_alu instid0(VALU_DEP_4) | instskip(NEXT) | instid1(VALU_DEP_3)
	.loc	2 36 40                         ; random.py:36:40 @[ random.py:69:57 @[ random.py:110:54 @[ random.py:84:43 @[ random.py:155:35 @[ dropout.py:14:27 ] ] ] ] ]
	v_xor3_b32 v14, s26, s25, v14
	v_xor3_b32 v3, v3, v15, s19
	s_delay_alu instid0(VALU_DEP_2) | instskip(SKIP_1) | instid1(VALU_DEP_3)
	.loc	2 35 28                         ; random.py:35:28 @[ random.py:69:57 @[ random.py:110:54 @[ random.py:84:43 @[ random.py:155:35 @[ dropout.py:14:27 ] ] ] ] ]
	v_mul_hi_u32 v16, 0xcd9e8d57, v14
	.loc	2 37 23                         ; random.py:37:23 @[ random.py:69:57 @[ random.py:110:54 @[ random.py:84:43 @[ random.py:155:35 @[ dropout.py:14:27 ] ] ] ] ]
	v_mul_lo_u32 v14, 0xcd9e8d57, v14
	.loc	2 35 28                         ; random.py:35:28 @[ random.py:69:57 @[ random.py:110:54 @[ random.py:84:43 @[ random.py:155:35 @[ dropout.py:14:27 ] ] ] ] ]
	v_mul_hi_u32 v15, 0xcd9e8d57, v3
	.loc	2 37 23                         ; random.py:37:23 @[ random.py:69:57 @[ random.py:110:54 @[ random.py:84:43 @[ random.py:155:35 @[ dropout.py:14:27 ] ] ] ] ]
	v_mul_lo_u32 v3, 0xcd9e8d57, v3
	s_delay_alu instid0(VALU_DEP_4) | instskip(NEXT) | instid1(VALU_DEP_3)
	.loc	2 35 40                         ; random.py:35:40 @[ random.py:69:57 @[ random.py:110:54 @[ random.py:84:43 @[ random.py:155:35 @[ dropout.py:14:27 ] ] ] ] ]
	v_xor3_b32 v4, v4, v16, s22
	;; [unrolled: 13-line block ×4, first 2 shown]
	v_xor3_b32 v2, v2, v15, s13
	s_delay_alu instid0(VALU_DEP_2) | instskip(SKIP_1) | instid1(VALU_DEP_3)
	.loc	2 36 28                         ; random.py:36:28 @[ random.py:69:57 @[ random.py:110:54 @[ random.py:84:43 @[ random.py:155:35 @[ dropout.py:14:27 ] ] ] ] ]
	v_mul_hi_u32 v16, 0xd2511f53, v3
	.loc	2 38 23                         ; random.py:38:23 @[ random.py:69:57 @[ random.py:110:54 @[ random.py:84:43 @[ random.py:155:35 @[ dropout.py:14:27 ] ] ] ] ]
	v_mul_lo_u32 v3, 0xd2511f53, v3
	.loc	2 36 28                         ; random.py:36:28 @[ random.py:69:57 @[ random.py:110:54 @[ random.py:84:43 @[ random.py:155:35 @[ dropout.py:14:27 ] ] ] ] ]
	v_mul_hi_u32 v15, 0xd2511f53, v2
	.loc	2 38 23                         ; random.py:38:23 @[ random.py:69:57 @[ random.py:110:54 @[ random.py:84:43 @[ random.py:155:35 @[ dropout.py:14:27 ] ] ] ] ]
	v_mul_lo_u32 v2, 0xd2511f53, v2
	s_delay_alu instid0(VALU_DEP_4) | instskip(SKIP_1) | instid1(VALU_DEP_4)
	.loc	2 36 40                         ; random.py:36:40 @[ random.py:69:57 @[ random.py:110:54 @[ random.py:84:43 @[ random.py:155:35 @[ dropout.py:14:27 ] ] ] ] ]
	v_xor3_b32 v14, v14, v16, s16
.Ltmp65:
	.loc	1 16 35                         ; dropout.py:16:35
	v_div_scale_f32 v16, null, s1, s1, v12
.Ltmp66:
	.loc	2 36 40                         ; random.py:36:40 @[ random.py:69:57 @[ random.py:110:54 @[ random.py:84:43 @[ random.py:155:35 @[ dropout.py:14:27 ] ] ] ] ]
	v_xor3_b32 v3, v3, v15, s12
.Ltmp67:
	.loc	1 16 35                         ; dropout.py:16:35
	v_div_scale_f32 v15, vcc_lo, v12, s1, v12
	s_delay_alu instid0(VALU_DEP_4) | instskip(NEXT) | instid1(VALU_DEP_3)
.Ltmp68:
	.loc	2 35 28                         ; random.py:35:28 @[ random.py:69:57 @[ random.py:110:54 @[ random.py:84:43 @[ random.py:155:35 @[ dropout.py:14:27 ] ] ] ] ]
	v_mul_hi_u32 v14, 0xcd9e8d57, v14
	.loc	2 37 23                         ; random.py:37:23 @[ random.py:69:57 @[ random.py:110:54 @[ random.py:84:43 @[ random.py:155:35 @[ dropout.py:14:27 ] ] ] ] ]
	v_mul_lo_u32 v3, 0xcd9e8d57, v3
	s_delay_alu instid0(VALU_DEP_2) | instskip(SKIP_1) | instid1(VALU_DEP_1)
	.loc	2 35 40                         ; random.py:35:40 @[ random.py:69:57 @[ random.py:110:54 @[ random.py:84:43 @[ random.py:155:35 @[ dropout.py:14:27 ] ] ] ] ]
	v_xor3_b32 v4, v4, v14, s14
.Ltmp69:
	.loc	1 16 35                         ; dropout.py:16:35
	v_rcp_f32_e32 v14, v16
.Ltmp70:
	.loc	2 36 28                         ; random.py:36:28 @[ random.py:69:57 @[ random.py:110:54 @[ random.py:84:43 @[ random.py:155:35 @[ dropout.py:14:27 ] ] ] ] ]
	v_mul_hi_u32 v4, 0xd2511f53, v4
	s_delay_alu instid0(VALU_DEP_1) | instskip(NEXT) | instid1(TRANS32_DEP_1)
	.loc	2 36 40 is_stmt 0               ; random.py:36:40 @[ random.py:69:57 @[ random.py:110:54 @[ random.py:84:43 @[ random.py:155:35 @[ dropout.py:14:27 ] ] ] ] ]
	v_xor3_b32 v2, v2, v4, s10
.Ltmp71:
	.loc	1 16 35 is_stmt 1               ; dropout.py:16:35
	v_fma_f32 v4, -v16, v14, 1.0
	s_delay_alu instid0(VALU_DEP_2) | instskip(NEXT) | instid1(VALU_DEP_2)
.Ltmp72:
	.loc	2 35 28                         ; random.py:35:28 @[ random.py:69:57 @[ random.py:110:54 @[ random.py:84:43 @[ random.py:155:35 @[ dropout.py:14:27 ] ] ] ] ]
	v_mul_hi_u32 v2, 0xcd9e8d57, v2
.Ltmp73:
	.loc	1 16 35                         ; dropout.py:16:35
	v_fmac_f32_e32 v14, v4, v14
	s_delay_alu instid0(VALU_DEP_1) | instskip(NEXT) | instid1(VALU_DEP_3)
	v_mul_f32_e32 v4, v15, v14
.Ltmp74:
	.loc	2 35 40                         ; random.py:35:40 @[ random.py:69:57 @[ random.py:110:54 @[ random.py:84:43 @[ random.py:155:35 @[ dropout.py:14:27 ] ] ] ] ]
	v_xor3_b32 v2, v3, v2, s9
	s_delay_alu instid0(VALU_DEP_2) | instskip(NEXT) | instid1(VALU_DEP_2)
.Ltmp75:
	.loc	1 16 35                         ; dropout.py:16:35
	v_fma_f32 v3, -v16, v4, v15
.Ltmp76:
	.loc	2 142 32                        ; random.py:142:32 @[ random.py:156:33 @[ dropout.py:14:27 ] ]
	v_ashrrev_i32_e32 v17, 31, v2
	s_delay_alu instid0(VALU_DEP_2) | instskip(NEXT) | instid1(VALU_DEP_2)
.Ltmp77:
	.loc	1 16 35                         ; dropout.py:16:35
	v_fmac_f32_e32 v4, v3, v14
.Ltmp78:
	.loc	2 142 32                        ; random.py:142:32 @[ random.py:156:33 @[ dropout.py:14:27 ] ]
	v_xor_b32_e32 v2, v17, v2
	s_delay_alu instid0(VALU_DEP_2) | instskip(NEXT) | instid1(VALU_DEP_2)
.Ltmp79:
	.loc	1 16 35                         ; dropout.py:16:35
	v_fma_f32 v3, -v16, v4, v15
.Ltmp80:
	.loc	2 143 15                        ; random.py:143:15 @[ random.py:156:33 @[ dropout.py:14:27 ] ]
	v_cvt_f32_i32_e32 v2, v2
.Ltmp81:
	.loc	1 16 35                         ; dropout.py:16:35
	s_wait_alu depctr_va_vcc(0)
	s_delay_alu instid0(VALU_DEP_2) | instskip(NEXT) | instid1(VALU_DEP_2)
	v_div_fmas_f32 v3, v3, v14, v4
.Ltmp82:
	.loc	2 143 15                        ; random.py:143:15 @[ random.py:156:33 @[ dropout.py:14:27 ] ]
	v_mul_f32_e32 v2, 0x2fffffff, v2
	s_delay_alu instid0(VALU_DEP_2) | instskip(NEXT) | instid1(VALU_DEP_2)
.Ltmp83:
	.loc	1 16 35                         ; dropout.py:16:35
	v_div_fixup_f32 v3, v3, s1, v12
	.loc	1 15 22                         ; dropout.py:15:22
	v_cmp_lt_f32_e32 vcc_lo, s8, v2
	.loc	1 16 43                         ; dropout.py:16:43
	s_wait_alu depctr_va_vcc(0)
	s_delay_alu instid0(VALU_DEP_2)
	v_cndmask_b32_e32 v2, 0, v3, vcc_lo
	.loc	1 17 35                         ; dropout.py:17:35
	global_store_b32 v[0:1], v2, off offset:1536
	s_or_b32 exec_lo, exec_lo, s6
	s_and_saveexec_b32 s5, s4
	s_cbranch_execz .LBB0_21
.LBB0_29:
.Ltmp84:
	.loc	2 36 28                         ; random.py:36:28 @[ random.py:69:57 @[ random.py:110:54 @[ random.py:84:43 @[ random.py:155:35 @[ dropout.py:14:27 ] ] ] ] ]
	v_mul_hi_u32 v2, 0xd2511f53, v13
	.loc	2 38 23                         ; random.py:38:23 @[ random.py:69:57 @[ random.py:110:54 @[ random.py:84:43 @[ random.py:155:35 @[ dropout.py:14:27 ] ] ] ] ]
	v_mul_lo_u32 v4, 0xd2511f53, v13
	s_delay_alu instid0(VALU_DEP_2) | instskip(NEXT) | instid1(VALU_DEP_2)
	.loc	2 36 40                         ; random.py:36:40 @[ random.py:69:57 @[ random.py:110:54 @[ random.py:84:43 @[ random.py:155:35 @[ dropout.py:14:27 ] ] ] ] ]
	v_xor_b32_e32 v2, s28, v2
	v_xor3_b32 v4, s23, s24, v4
	s_delay_alu instid0(VALU_DEP_2) | instskip(SKIP_1) | instid1(VALU_DEP_3)
	.loc	2 35 28                         ; random.py:35:28 @[ random.py:69:57 @[ random.py:110:54 @[ random.py:84:43 @[ random.py:155:35 @[ dropout.py:14:27 ] ] ] ] ]
	v_mul_hi_u32 v3, 0xcd9e8d57, v2
	.loc	2 37 23                         ; random.py:37:23 @[ random.py:69:57 @[ random.py:110:54 @[ random.py:84:43 @[ random.py:155:35 @[ dropout.py:14:27 ] ] ] ] ]
	v_mul_lo_u32 v2, 0xcd9e8d57, v2
	.loc	2 35 28                         ; random.py:35:28 @[ random.py:69:57 @[ random.py:110:54 @[ random.py:84:43 @[ random.py:155:35 @[ dropout.py:14:27 ] ] ] ] ]
	v_mul_hi_u32 v13, 0xcd9e8d57, v4
	.loc	2 37 23                         ; random.py:37:23 @[ random.py:69:57 @[ random.py:110:54 @[ random.py:84:43 @[ random.py:155:35 @[ dropout.py:14:27 ] ] ] ] ]
	v_mul_lo_u32 v4, 0xcd9e8d57, v4
	s_delay_alu instid0(VALU_DEP_4) | instskip(NEXT) | instid1(VALU_DEP_3)
	.loc	2 35 40                         ; random.py:35:40 @[ random.py:69:57 @[ random.py:110:54 @[ random.py:84:43 @[ random.py:155:35 @[ dropout.py:14:27 ] ] ] ] ]
	v_xor_b32_e32 v3, s27, v3
	v_xor3_b32 v2, v2, v13, s21
	.loc	2 36 28                         ; random.py:36:28 @[ random.py:69:57 @[ random.py:110:54 @[ random.py:84:43 @[ random.py:155:35 @[ dropout.py:14:27 ] ] ] ] ]
	s_wait_loadcnt 0x0
	s_delay_alu instid0(VALU_DEP_2) | instskip(SKIP_1) | instid1(VALU_DEP_3)
	v_mul_hi_u32 v12, 0xd2511f53, v3
	.loc	2 38 23                         ; random.py:38:23 @[ random.py:69:57 @[ random.py:110:54 @[ random.py:84:43 @[ random.py:155:35 @[ dropout.py:14:27 ] ] ] ] ]
	v_mul_lo_u32 v3, 0xd2511f53, v3
	.loc	2 36 28                         ; random.py:36:28 @[ random.py:69:57 @[ random.py:110:54 @[ random.py:84:43 @[ random.py:155:35 @[ dropout.py:14:27 ] ] ] ] ]
	v_mul_hi_u32 v13, 0xd2511f53, v2
	.loc	2 38 23                         ; random.py:38:23 @[ random.py:69:57 @[ random.py:110:54 @[ random.py:84:43 @[ random.py:155:35 @[ dropout.py:14:27 ] ] ] ] ]
	v_mul_lo_u32 v2, 0xd2511f53, v2
	s_delay_alu instid0(VALU_DEP_4) | instskip(NEXT) | instid1(VALU_DEP_3)
	.loc	2 36 40                         ; random.py:36:40 @[ random.py:69:57 @[ random.py:110:54 @[ random.py:84:43 @[ random.py:155:35 @[ dropout.py:14:27 ] ] ] ] ]
	v_xor3_b32 v12, s26, s25, v12
	v_xor3_b32 v3, v3, v13, s19
	s_delay_alu instid0(VALU_DEP_2) | instskip(SKIP_1) | instid1(VALU_DEP_3)
	.loc	2 35 28                         ; random.py:35:28 @[ random.py:69:57 @[ random.py:110:54 @[ random.py:84:43 @[ random.py:155:35 @[ dropout.py:14:27 ] ] ] ] ]
	v_mul_hi_u32 v14, 0xcd9e8d57, v12
	.loc	2 37 23                         ; random.py:37:23 @[ random.py:69:57 @[ random.py:110:54 @[ random.py:84:43 @[ random.py:155:35 @[ dropout.py:14:27 ] ] ] ] ]
	v_mul_lo_u32 v12, 0xcd9e8d57, v12
	.loc	2 35 28                         ; random.py:35:28 @[ random.py:69:57 @[ random.py:110:54 @[ random.py:84:43 @[ random.py:155:35 @[ dropout.py:14:27 ] ] ] ] ]
	v_mul_hi_u32 v13, 0xcd9e8d57, v3
	.loc	2 37 23                         ; random.py:37:23 @[ random.py:69:57 @[ random.py:110:54 @[ random.py:84:43 @[ random.py:155:35 @[ dropout.py:14:27 ] ] ] ] ]
	v_mul_lo_u32 v3, 0xcd9e8d57, v3
	s_delay_alu instid0(VALU_DEP_4) | instskip(NEXT) | instid1(VALU_DEP_3)
	.loc	2 35 40                         ; random.py:35:40 @[ random.py:69:57 @[ random.py:110:54 @[ random.py:84:43 @[ random.py:155:35 @[ dropout.py:14:27 ] ] ] ] ]
	v_xor3_b32 v4, v4, v14, s22
	v_xor3_b32 v12, v12, v13, s17
	s_delay_alu instid0(VALU_DEP_2) | instskip(SKIP_1) | instid1(VALU_DEP_3)
	.loc	2 36 28                         ; random.py:36:28 @[ random.py:69:57 @[ random.py:110:54 @[ random.py:84:43 @[ random.py:155:35 @[ dropout.py:14:27 ] ] ] ] ]
	;; [unrolled: 13-line block ×4, first 2 shown]
	v_mul_hi_u32 v14, 0xd2511f53, v3
	.loc	2 38 23                         ; random.py:38:23 @[ random.py:69:57 @[ random.py:110:54 @[ random.py:84:43 @[ random.py:155:35 @[ dropout.py:14:27 ] ] ] ] ]
	v_mul_lo_u32 v3, 0xd2511f53, v3
	.loc	2 36 28                         ; random.py:36:28 @[ random.py:69:57 @[ random.py:110:54 @[ random.py:84:43 @[ random.py:155:35 @[ dropout.py:14:27 ] ] ] ] ]
	v_mul_hi_u32 v13, 0xd2511f53, v2
	.loc	2 38 23                         ; random.py:38:23 @[ random.py:69:57 @[ random.py:110:54 @[ random.py:84:43 @[ random.py:155:35 @[ dropout.py:14:27 ] ] ] ] ]
	v_mul_lo_u32 v2, 0xd2511f53, v2
	s_delay_alu instid0(VALU_DEP_4) | instskip(SKIP_1) | instid1(VALU_DEP_4)
	.loc	2 36 40                         ; random.py:36:40 @[ random.py:69:57 @[ random.py:110:54 @[ random.py:84:43 @[ random.py:155:35 @[ dropout.py:14:27 ] ] ] ] ]
	v_xor3_b32 v12, v12, v14, s16
.Ltmp85:
	.loc	1 16 35                         ; dropout.py:16:35
	v_div_scale_f32 v14, null, s1, s1, v11
.Ltmp86:
	.loc	2 36 40                         ; random.py:36:40 @[ random.py:69:57 @[ random.py:110:54 @[ random.py:84:43 @[ random.py:155:35 @[ dropout.py:14:27 ] ] ] ] ]
	v_xor3_b32 v3, v3, v13, s12
.Ltmp87:
	.loc	1 16 35                         ; dropout.py:16:35
	v_div_scale_f32 v13, vcc_lo, v11, s1, v11
	s_delay_alu instid0(VALU_DEP_4) | instskip(NEXT) | instid1(VALU_DEP_3)
.Ltmp88:
	.loc	2 35 28                         ; random.py:35:28 @[ random.py:69:57 @[ random.py:110:54 @[ random.py:84:43 @[ random.py:155:35 @[ dropout.py:14:27 ] ] ] ] ]
	v_mul_hi_u32 v12, 0xcd9e8d57, v12
	.loc	2 37 23                         ; random.py:37:23 @[ random.py:69:57 @[ random.py:110:54 @[ random.py:84:43 @[ random.py:155:35 @[ dropout.py:14:27 ] ] ] ] ]
	v_mul_lo_u32 v3, 0xcd9e8d57, v3
	s_delay_alu instid0(VALU_DEP_2) | instskip(SKIP_1) | instid1(VALU_DEP_1)
	.loc	2 35 40                         ; random.py:35:40 @[ random.py:69:57 @[ random.py:110:54 @[ random.py:84:43 @[ random.py:155:35 @[ dropout.py:14:27 ] ] ] ] ]
	v_xor3_b32 v4, v4, v12, s14
.Ltmp89:
	.loc	1 16 35                         ; dropout.py:16:35
	v_rcp_f32_e32 v12, v14
.Ltmp90:
	.loc	2 36 28                         ; random.py:36:28 @[ random.py:69:57 @[ random.py:110:54 @[ random.py:84:43 @[ random.py:155:35 @[ dropout.py:14:27 ] ] ] ] ]
	v_mul_hi_u32 v4, 0xd2511f53, v4
	s_delay_alu instid0(VALU_DEP_1) | instskip(NEXT) | instid1(TRANS32_DEP_1)
	.loc	2 36 40 is_stmt 0               ; random.py:36:40 @[ random.py:69:57 @[ random.py:110:54 @[ random.py:84:43 @[ random.py:155:35 @[ dropout.py:14:27 ] ] ] ] ]
	v_xor3_b32 v2, v2, v4, s10
.Ltmp91:
	.loc	1 16 35 is_stmt 1               ; dropout.py:16:35
	v_fma_f32 v4, -v14, v12, 1.0
	s_delay_alu instid0(VALU_DEP_2) | instskip(NEXT) | instid1(VALU_DEP_2)
.Ltmp92:
	.loc	2 35 28                         ; random.py:35:28 @[ random.py:69:57 @[ random.py:110:54 @[ random.py:84:43 @[ random.py:155:35 @[ dropout.py:14:27 ] ] ] ] ]
	v_mul_hi_u32 v2, 0xcd9e8d57, v2
.Ltmp93:
	.loc	1 16 35                         ; dropout.py:16:35
	v_fmac_f32_e32 v12, v4, v12
	s_delay_alu instid0(VALU_DEP_1) | instskip(NEXT) | instid1(VALU_DEP_3)
	v_mul_f32_e32 v4, v13, v12
.Ltmp94:
	.loc	2 35 40                         ; random.py:35:40 @[ random.py:69:57 @[ random.py:110:54 @[ random.py:84:43 @[ random.py:155:35 @[ dropout.py:14:27 ] ] ] ] ]
	v_xor3_b32 v2, v3, v2, s9
	s_delay_alu instid0(VALU_DEP_2) | instskip(NEXT) | instid1(VALU_DEP_2)
.Ltmp95:
	.loc	1 16 35                         ; dropout.py:16:35
	v_fma_f32 v3, -v14, v4, v13
.Ltmp96:
	.loc	2 142 32                        ; random.py:142:32 @[ random.py:156:33 @[ dropout.py:14:27 ] ]
	v_ashrrev_i32_e32 v15, 31, v2
	s_delay_alu instid0(VALU_DEP_2) | instskip(NEXT) | instid1(VALU_DEP_2)
.Ltmp97:
	.loc	1 16 35                         ; dropout.py:16:35
	v_fmac_f32_e32 v4, v3, v12
.Ltmp98:
	.loc	2 142 32                        ; random.py:142:32 @[ random.py:156:33 @[ dropout.py:14:27 ] ]
	v_xor_b32_e32 v2, v15, v2
	s_delay_alu instid0(VALU_DEP_2) | instskip(NEXT) | instid1(VALU_DEP_2)
.Ltmp99:
	.loc	1 16 35                         ; dropout.py:16:35
	v_fma_f32 v3, -v14, v4, v13
.Ltmp100:
	.loc	2 143 15                        ; random.py:143:15 @[ random.py:156:33 @[ dropout.py:14:27 ] ]
	v_cvt_f32_i32_e32 v2, v2
.Ltmp101:
	.loc	1 16 35                         ; dropout.py:16:35
	s_wait_alu depctr_va_vcc(0)
	s_delay_alu instid0(VALU_DEP_2) | instskip(NEXT) | instid1(VALU_DEP_2)
	v_div_fmas_f32 v3, v3, v12, v4
.Ltmp102:
	.loc	2 143 15                        ; random.py:143:15 @[ random.py:156:33 @[ dropout.py:14:27 ] ]
	v_mul_f32_e32 v2, 0x2fffffff, v2
	s_delay_alu instid0(VALU_DEP_2) | instskip(NEXT) | instid1(VALU_DEP_2)
.Ltmp103:
	.loc	1 16 35                         ; dropout.py:16:35
	v_div_fixup_f32 v3, v3, s1, v11
	.loc	1 15 22                         ; dropout.py:15:22
	v_cmp_lt_f32_e32 vcc_lo, s8, v2
	.loc	1 16 43                         ; dropout.py:16:43
	s_wait_alu depctr_va_vcc(0)
	s_delay_alu instid0(VALU_DEP_2)
	v_cndmask_b32_e32 v2, 0, v3, vcc_lo
	.loc	1 17 35                         ; dropout.py:17:35
	global_store_b32 v[0:1], v2, off offset:2048
	s_wait_alu depctr_sa_sdst(0)
	s_or_b32 exec_lo, exec_lo, s5
	s_and_saveexec_b32 s4, s3
	s_cbranch_execz .LBB0_22
.LBB0_30:
.Ltmp104:
	.loc	2 36 28                         ; random.py:36:28 @[ random.py:69:57 @[ random.py:110:54 @[ random.py:84:43 @[ random.py:155:35 @[ dropout.py:14:27 ] ] ] ] ]
	v_mul_hi_u32 v2, 0xd2511f53, v10
	.loc	2 38 23                         ; random.py:38:23 @[ random.py:69:57 @[ random.py:110:54 @[ random.py:84:43 @[ random.py:155:35 @[ dropout.py:14:27 ] ] ] ] ]
	v_mul_lo_u32 v4, 0xd2511f53, v10
	s_delay_alu instid0(VALU_DEP_2) | instskip(NEXT) | instid1(VALU_DEP_2)
	.loc	2 36 40                         ; random.py:36:40 @[ random.py:69:57 @[ random.py:110:54 @[ random.py:84:43 @[ random.py:155:35 @[ dropout.py:14:27 ] ] ] ] ]
	v_xor_b32_e32 v2, s28, v2
	v_xor3_b32 v4, s23, s24, v4
	s_delay_alu instid0(VALU_DEP_2) | instskip(SKIP_2) | instid1(VALU_DEP_3)
	.loc	2 35 28                         ; random.py:35:28 @[ random.py:69:57 @[ random.py:110:54 @[ random.py:84:43 @[ random.py:155:35 @[ dropout.py:14:27 ] ] ] ] ]
	v_mul_hi_u32 v3, 0xcd9e8d57, v2
	.loc	2 37 23                         ; random.py:37:23 @[ random.py:69:57 @[ random.py:110:54 @[ random.py:84:43 @[ random.py:155:35 @[ dropout.py:14:27 ] ] ] ] ]
	v_mul_lo_u32 v2, 0xcd9e8d57, v2
	.loc	2 35 28                         ; random.py:35:28 @[ random.py:69:57 @[ random.py:110:54 @[ random.py:84:43 @[ random.py:155:35 @[ dropout.py:14:27 ] ] ] ] ]
	s_wait_loadcnt 0x0
	v_mul_hi_u32 v11, 0xcd9e8d57, v4
	.loc	2 37 23                         ; random.py:37:23 @[ random.py:69:57 @[ random.py:110:54 @[ random.py:84:43 @[ random.py:155:35 @[ dropout.py:14:27 ] ] ] ] ]
	v_mul_lo_u32 v4, 0xcd9e8d57, v4
	s_delay_alu instid0(VALU_DEP_4) | instskip(NEXT) | instid1(VALU_DEP_3)
	.loc	2 35 40                         ; random.py:35:40 @[ random.py:69:57 @[ random.py:110:54 @[ random.py:84:43 @[ random.py:155:35 @[ dropout.py:14:27 ] ] ] ] ]
	v_xor_b32_e32 v3, s27, v3
	v_xor3_b32 v2, v2, v11, s21
	s_delay_alu instid0(VALU_DEP_2) | instskip(SKIP_1) | instid1(VALU_DEP_3)
	.loc	2 36 28                         ; random.py:36:28 @[ random.py:69:57 @[ random.py:110:54 @[ random.py:84:43 @[ random.py:155:35 @[ dropout.py:14:27 ] ] ] ] ]
	v_mul_hi_u32 v10, 0xd2511f53, v3
	.loc	2 38 23                         ; random.py:38:23 @[ random.py:69:57 @[ random.py:110:54 @[ random.py:84:43 @[ random.py:155:35 @[ dropout.py:14:27 ] ] ] ] ]
	v_mul_lo_u32 v3, 0xd2511f53, v3
	.loc	2 36 28                         ; random.py:36:28 @[ random.py:69:57 @[ random.py:110:54 @[ random.py:84:43 @[ random.py:155:35 @[ dropout.py:14:27 ] ] ] ] ]
	v_mul_hi_u32 v11, 0xd2511f53, v2
	.loc	2 38 23                         ; random.py:38:23 @[ random.py:69:57 @[ random.py:110:54 @[ random.py:84:43 @[ random.py:155:35 @[ dropout.py:14:27 ] ] ] ] ]
	v_mul_lo_u32 v2, 0xd2511f53, v2
	s_delay_alu instid0(VALU_DEP_4) | instskip(NEXT) | instid1(VALU_DEP_3)
	.loc	2 36 40                         ; random.py:36:40 @[ random.py:69:57 @[ random.py:110:54 @[ random.py:84:43 @[ random.py:155:35 @[ dropout.py:14:27 ] ] ] ] ]
	v_xor3_b32 v10, s26, s25, v10
	v_xor3_b32 v3, v3, v11, s19
	s_delay_alu instid0(VALU_DEP_2) | instskip(SKIP_1) | instid1(VALU_DEP_3)
	.loc	2 35 28                         ; random.py:35:28 @[ random.py:69:57 @[ random.py:110:54 @[ random.py:84:43 @[ random.py:155:35 @[ dropout.py:14:27 ] ] ] ] ]
	v_mul_hi_u32 v12, 0xcd9e8d57, v10
	.loc	2 37 23                         ; random.py:37:23 @[ random.py:69:57 @[ random.py:110:54 @[ random.py:84:43 @[ random.py:155:35 @[ dropout.py:14:27 ] ] ] ] ]
	v_mul_lo_u32 v10, 0xcd9e8d57, v10
	.loc	2 35 28                         ; random.py:35:28 @[ random.py:69:57 @[ random.py:110:54 @[ random.py:84:43 @[ random.py:155:35 @[ dropout.py:14:27 ] ] ] ] ]
	v_mul_hi_u32 v11, 0xcd9e8d57, v3
	.loc	2 37 23                         ; random.py:37:23 @[ random.py:69:57 @[ random.py:110:54 @[ random.py:84:43 @[ random.py:155:35 @[ dropout.py:14:27 ] ] ] ] ]
	v_mul_lo_u32 v3, 0xcd9e8d57, v3
	s_delay_alu instid0(VALU_DEP_4) | instskip(NEXT) | instid1(VALU_DEP_3)
	.loc	2 35 40                         ; random.py:35:40 @[ random.py:69:57 @[ random.py:110:54 @[ random.py:84:43 @[ random.py:155:35 @[ dropout.py:14:27 ] ] ] ] ]
	v_xor3_b32 v4, v4, v12, s22
	;; [unrolled: 13-line block ×4, first 2 shown]
	v_xor3_b32 v2, v2, v11, s13
	s_delay_alu instid0(VALU_DEP_2) | instskip(SKIP_1) | instid1(VALU_DEP_3)
	.loc	2 36 28                         ; random.py:36:28 @[ random.py:69:57 @[ random.py:110:54 @[ random.py:84:43 @[ random.py:155:35 @[ dropout.py:14:27 ] ] ] ] ]
	v_mul_hi_u32 v12, 0xd2511f53, v3
	.loc	2 38 23                         ; random.py:38:23 @[ random.py:69:57 @[ random.py:110:54 @[ random.py:84:43 @[ random.py:155:35 @[ dropout.py:14:27 ] ] ] ] ]
	v_mul_lo_u32 v3, 0xd2511f53, v3
	.loc	2 36 28                         ; random.py:36:28 @[ random.py:69:57 @[ random.py:110:54 @[ random.py:84:43 @[ random.py:155:35 @[ dropout.py:14:27 ] ] ] ] ]
	v_mul_hi_u32 v11, 0xd2511f53, v2
	.loc	2 38 23                         ; random.py:38:23 @[ random.py:69:57 @[ random.py:110:54 @[ random.py:84:43 @[ random.py:155:35 @[ dropout.py:14:27 ] ] ] ] ]
	v_mul_lo_u32 v2, 0xd2511f53, v2
	s_delay_alu instid0(VALU_DEP_4) | instskip(SKIP_1) | instid1(VALU_DEP_4)
	.loc	2 36 40                         ; random.py:36:40 @[ random.py:69:57 @[ random.py:110:54 @[ random.py:84:43 @[ random.py:155:35 @[ dropout.py:14:27 ] ] ] ] ]
	v_xor3_b32 v10, v10, v12, s16
.Ltmp105:
	.loc	1 16 35                         ; dropout.py:16:35
	v_div_scale_f32 v12, null, s1, s1, v8
.Ltmp106:
	.loc	2 36 40                         ; random.py:36:40 @[ random.py:69:57 @[ random.py:110:54 @[ random.py:84:43 @[ random.py:155:35 @[ dropout.py:14:27 ] ] ] ] ]
	v_xor3_b32 v3, v3, v11, s12
.Ltmp107:
	.loc	1 16 35                         ; dropout.py:16:35
	v_div_scale_f32 v11, vcc_lo, v8, s1, v8
	s_delay_alu instid0(VALU_DEP_4) | instskip(NEXT) | instid1(VALU_DEP_3)
.Ltmp108:
	.loc	2 35 28                         ; random.py:35:28 @[ random.py:69:57 @[ random.py:110:54 @[ random.py:84:43 @[ random.py:155:35 @[ dropout.py:14:27 ] ] ] ] ]
	v_mul_hi_u32 v10, 0xcd9e8d57, v10
	.loc	2 37 23                         ; random.py:37:23 @[ random.py:69:57 @[ random.py:110:54 @[ random.py:84:43 @[ random.py:155:35 @[ dropout.py:14:27 ] ] ] ] ]
	v_mul_lo_u32 v3, 0xcd9e8d57, v3
	s_delay_alu instid0(VALU_DEP_2) | instskip(SKIP_1) | instid1(VALU_DEP_1)
	.loc	2 35 40                         ; random.py:35:40 @[ random.py:69:57 @[ random.py:110:54 @[ random.py:84:43 @[ random.py:155:35 @[ dropout.py:14:27 ] ] ] ] ]
	v_xor3_b32 v4, v4, v10, s14
.Ltmp109:
	.loc	1 16 35                         ; dropout.py:16:35
	v_rcp_f32_e32 v10, v12
.Ltmp110:
	.loc	2 36 28                         ; random.py:36:28 @[ random.py:69:57 @[ random.py:110:54 @[ random.py:84:43 @[ random.py:155:35 @[ dropout.py:14:27 ] ] ] ] ]
	v_mul_hi_u32 v4, 0xd2511f53, v4
	s_delay_alu instid0(VALU_DEP_1) | instskip(NEXT) | instid1(TRANS32_DEP_1)
	.loc	2 36 40 is_stmt 0               ; random.py:36:40 @[ random.py:69:57 @[ random.py:110:54 @[ random.py:84:43 @[ random.py:155:35 @[ dropout.py:14:27 ] ] ] ] ]
	v_xor3_b32 v2, v2, v4, s10
.Ltmp111:
	.loc	1 16 35 is_stmt 1               ; dropout.py:16:35
	v_fma_f32 v4, -v12, v10, 1.0
	s_delay_alu instid0(VALU_DEP_2) | instskip(NEXT) | instid1(VALU_DEP_2)
.Ltmp112:
	.loc	2 35 28                         ; random.py:35:28 @[ random.py:69:57 @[ random.py:110:54 @[ random.py:84:43 @[ random.py:155:35 @[ dropout.py:14:27 ] ] ] ] ]
	v_mul_hi_u32 v2, 0xcd9e8d57, v2
.Ltmp113:
	.loc	1 16 35                         ; dropout.py:16:35
	v_fmac_f32_e32 v10, v4, v10
	s_delay_alu instid0(VALU_DEP_1) | instskip(NEXT) | instid1(VALU_DEP_3)
	v_mul_f32_e32 v4, v11, v10
.Ltmp114:
	.loc	2 35 40                         ; random.py:35:40 @[ random.py:69:57 @[ random.py:110:54 @[ random.py:84:43 @[ random.py:155:35 @[ dropout.py:14:27 ] ] ] ] ]
	v_xor3_b32 v2, v3, v2, s9
	s_delay_alu instid0(VALU_DEP_2) | instskip(NEXT) | instid1(VALU_DEP_2)
.Ltmp115:
	.loc	1 16 35                         ; dropout.py:16:35
	v_fma_f32 v3, -v12, v4, v11
.Ltmp116:
	.loc	2 142 32                        ; random.py:142:32 @[ random.py:156:33 @[ dropout.py:14:27 ] ]
	v_ashrrev_i32_e32 v13, 31, v2
	s_delay_alu instid0(VALU_DEP_2) | instskip(NEXT) | instid1(VALU_DEP_2)
.Ltmp117:
	.loc	1 16 35                         ; dropout.py:16:35
	v_fmac_f32_e32 v4, v3, v10
.Ltmp118:
	.loc	2 142 32                        ; random.py:142:32 @[ random.py:156:33 @[ dropout.py:14:27 ] ]
	v_xor_b32_e32 v2, v13, v2
	s_delay_alu instid0(VALU_DEP_2) | instskip(NEXT) | instid1(VALU_DEP_2)
.Ltmp119:
	.loc	1 16 35                         ; dropout.py:16:35
	v_fma_f32 v3, -v12, v4, v11
.Ltmp120:
	.loc	2 143 15                        ; random.py:143:15 @[ random.py:156:33 @[ dropout.py:14:27 ] ]
	v_cvt_f32_i32_e32 v2, v2
.Ltmp121:
	.loc	1 16 35                         ; dropout.py:16:35
	s_wait_alu depctr_va_vcc(0)
	s_delay_alu instid0(VALU_DEP_2) | instskip(NEXT) | instid1(VALU_DEP_2)
	v_div_fmas_f32 v3, v3, v10, v4
.Ltmp122:
	.loc	2 143 15                        ; random.py:143:15 @[ random.py:156:33 @[ dropout.py:14:27 ] ]
	v_mul_f32_e32 v2, 0x2fffffff, v2
	s_delay_alu instid0(VALU_DEP_2) | instskip(NEXT) | instid1(VALU_DEP_2)
.Ltmp123:
	.loc	1 16 35                         ; dropout.py:16:35
	v_div_fixup_f32 v3, v3, s1, v8
	.loc	1 15 22                         ; dropout.py:15:22
	v_cmp_lt_f32_e32 vcc_lo, s8, v2
	.loc	1 16 43                         ; dropout.py:16:43
	s_wait_alu depctr_va_vcc(0)
	s_delay_alu instid0(VALU_DEP_2)
	v_cndmask_b32_e32 v2, 0, v3, vcc_lo
	.loc	1 17 35                         ; dropout.py:17:35
	global_store_b32 v[0:1], v2, off offset:2560
	s_wait_alu depctr_sa_sdst(0)
	s_or_b32 exec_lo, exec_lo, s4
	s_and_saveexec_b32 s3, s2
	s_cbranch_execz .LBB0_23
.LBB0_31:
.Ltmp124:
	.loc	2 36 28                         ; random.py:36:28 @[ random.py:69:57 @[ random.py:110:54 @[ random.py:84:43 @[ random.py:155:35 @[ dropout.py:14:27 ] ] ] ] ]
	v_mul_hi_u32 v2, 0xd2511f53, v9
	.loc	2 38 23                         ; random.py:38:23 @[ random.py:69:57 @[ random.py:110:54 @[ random.py:84:43 @[ random.py:155:35 @[ dropout.py:14:27 ] ] ] ] ]
	v_mul_lo_u32 v4, 0xd2511f53, v9
	s_delay_alu instid0(VALU_DEP_2) | instskip(NEXT) | instid1(VALU_DEP_2)
	.loc	2 36 40                         ; random.py:36:40 @[ random.py:69:57 @[ random.py:110:54 @[ random.py:84:43 @[ random.py:155:35 @[ dropout.py:14:27 ] ] ] ] ]
	v_xor_b32_e32 v2, s28, v2
	v_xor3_b32 v4, s23, s24, v4
	s_delay_alu instid0(VALU_DEP_2) | instskip(SKIP_1) | instid1(VALU_DEP_3)
	.loc	2 35 28                         ; random.py:35:28 @[ random.py:69:57 @[ random.py:110:54 @[ random.py:84:43 @[ random.py:155:35 @[ dropout.py:14:27 ] ] ] ] ]
	v_mul_hi_u32 v3, 0xcd9e8d57, v2
	.loc	2 37 23                         ; random.py:37:23 @[ random.py:69:57 @[ random.py:110:54 @[ random.py:84:43 @[ random.py:155:35 @[ dropout.py:14:27 ] ] ] ] ]
	v_mul_lo_u32 v2, 0xcd9e8d57, v2
	.loc	2 35 28                         ; random.py:35:28 @[ random.py:69:57 @[ random.py:110:54 @[ random.py:84:43 @[ random.py:155:35 @[ dropout.py:14:27 ] ] ] ] ]
	v_mul_hi_u32 v9, 0xcd9e8d57, v4
	.loc	2 37 23                         ; random.py:37:23 @[ random.py:69:57 @[ random.py:110:54 @[ random.py:84:43 @[ random.py:155:35 @[ dropout.py:14:27 ] ] ] ] ]
	v_mul_lo_u32 v4, 0xcd9e8d57, v4
	s_delay_alu instid0(VALU_DEP_4) | instskip(NEXT) | instid1(VALU_DEP_3)
	.loc	2 35 40                         ; random.py:35:40 @[ random.py:69:57 @[ random.py:110:54 @[ random.py:84:43 @[ random.py:155:35 @[ dropout.py:14:27 ] ] ] ] ]
	v_xor_b32_e32 v3, s27, v3
	v_xor3_b32 v2, v2, v9, s21
	.loc	2 36 28                         ; random.py:36:28 @[ random.py:69:57 @[ random.py:110:54 @[ random.py:84:43 @[ random.py:155:35 @[ dropout.py:14:27 ] ] ] ] ]
	s_wait_loadcnt 0x0
	s_delay_alu instid0(VALU_DEP_2) | instskip(SKIP_1) | instid1(VALU_DEP_3)
	v_mul_hi_u32 v8, 0xd2511f53, v3
	.loc	2 38 23                         ; random.py:38:23 @[ random.py:69:57 @[ random.py:110:54 @[ random.py:84:43 @[ random.py:155:35 @[ dropout.py:14:27 ] ] ] ] ]
	v_mul_lo_u32 v3, 0xd2511f53, v3
	.loc	2 36 28                         ; random.py:36:28 @[ random.py:69:57 @[ random.py:110:54 @[ random.py:84:43 @[ random.py:155:35 @[ dropout.py:14:27 ] ] ] ] ]
	v_mul_hi_u32 v9, 0xd2511f53, v2
	.loc	2 38 23                         ; random.py:38:23 @[ random.py:69:57 @[ random.py:110:54 @[ random.py:84:43 @[ random.py:155:35 @[ dropout.py:14:27 ] ] ] ] ]
	v_mul_lo_u32 v2, 0xd2511f53, v2
	s_delay_alu instid0(VALU_DEP_4) | instskip(NEXT) | instid1(VALU_DEP_3)
	.loc	2 36 40                         ; random.py:36:40 @[ random.py:69:57 @[ random.py:110:54 @[ random.py:84:43 @[ random.py:155:35 @[ dropout.py:14:27 ] ] ] ] ]
	v_xor3_b32 v8, s26, s25, v8
	v_xor3_b32 v3, v3, v9, s19
	s_delay_alu instid0(VALU_DEP_2) | instskip(SKIP_1) | instid1(VALU_DEP_3)
	.loc	2 35 28                         ; random.py:35:28 @[ random.py:69:57 @[ random.py:110:54 @[ random.py:84:43 @[ random.py:155:35 @[ dropout.py:14:27 ] ] ] ] ]
	v_mul_hi_u32 v10, 0xcd9e8d57, v8
	.loc	2 37 23                         ; random.py:37:23 @[ random.py:69:57 @[ random.py:110:54 @[ random.py:84:43 @[ random.py:155:35 @[ dropout.py:14:27 ] ] ] ] ]
	v_mul_lo_u32 v8, 0xcd9e8d57, v8
	.loc	2 35 28                         ; random.py:35:28 @[ random.py:69:57 @[ random.py:110:54 @[ random.py:84:43 @[ random.py:155:35 @[ dropout.py:14:27 ] ] ] ] ]
	v_mul_hi_u32 v9, 0xcd9e8d57, v3
	.loc	2 37 23                         ; random.py:37:23 @[ random.py:69:57 @[ random.py:110:54 @[ random.py:84:43 @[ random.py:155:35 @[ dropout.py:14:27 ] ] ] ] ]
	v_mul_lo_u32 v3, 0xcd9e8d57, v3
	s_delay_alu instid0(VALU_DEP_4) | instskip(NEXT) | instid1(VALU_DEP_3)
	.loc	2 35 40                         ; random.py:35:40 @[ random.py:69:57 @[ random.py:110:54 @[ random.py:84:43 @[ random.py:155:35 @[ dropout.py:14:27 ] ] ] ] ]
	v_xor3_b32 v4, v4, v10, s22
	v_xor3_b32 v8, v8, v9, s17
	s_delay_alu instid0(VALU_DEP_2) | instskip(SKIP_1) | instid1(VALU_DEP_3)
	.loc	2 36 28                         ; random.py:36:28 @[ random.py:69:57 @[ random.py:110:54 @[ random.py:84:43 @[ random.py:155:35 @[ dropout.py:14:27 ] ] ] ] ]
	;; [unrolled: 13-line block ×4, first 2 shown]
	v_mul_hi_u32 v10, 0xd2511f53, v3
	.loc	2 38 23                         ; random.py:38:23 @[ random.py:69:57 @[ random.py:110:54 @[ random.py:84:43 @[ random.py:155:35 @[ dropout.py:14:27 ] ] ] ] ]
	v_mul_lo_u32 v3, 0xd2511f53, v3
	.loc	2 36 28                         ; random.py:36:28 @[ random.py:69:57 @[ random.py:110:54 @[ random.py:84:43 @[ random.py:155:35 @[ dropout.py:14:27 ] ] ] ] ]
	v_mul_hi_u32 v9, 0xd2511f53, v2
	.loc	2 38 23                         ; random.py:38:23 @[ random.py:69:57 @[ random.py:110:54 @[ random.py:84:43 @[ random.py:155:35 @[ dropout.py:14:27 ] ] ] ] ]
	v_mul_lo_u32 v2, 0xd2511f53, v2
	s_delay_alu instid0(VALU_DEP_4) | instskip(SKIP_1) | instid1(VALU_DEP_4)
	.loc	2 36 40                         ; random.py:36:40 @[ random.py:69:57 @[ random.py:110:54 @[ random.py:84:43 @[ random.py:155:35 @[ dropout.py:14:27 ] ] ] ] ]
	v_xor3_b32 v8, v8, v10, s16
.Ltmp125:
	.loc	1 16 35                         ; dropout.py:16:35
	v_div_scale_f32 v10, null, s1, s1, v7
.Ltmp126:
	.loc	2 36 40                         ; random.py:36:40 @[ random.py:69:57 @[ random.py:110:54 @[ random.py:84:43 @[ random.py:155:35 @[ dropout.py:14:27 ] ] ] ] ]
	v_xor3_b32 v3, v3, v9, s12
.Ltmp127:
	.loc	1 16 35                         ; dropout.py:16:35
	v_div_scale_f32 v9, vcc_lo, v7, s1, v7
	s_delay_alu instid0(VALU_DEP_4) | instskip(NEXT) | instid1(VALU_DEP_3)
.Ltmp128:
	.loc	2 35 28                         ; random.py:35:28 @[ random.py:69:57 @[ random.py:110:54 @[ random.py:84:43 @[ random.py:155:35 @[ dropout.py:14:27 ] ] ] ] ]
	v_mul_hi_u32 v8, 0xcd9e8d57, v8
	.loc	2 37 23                         ; random.py:37:23 @[ random.py:69:57 @[ random.py:110:54 @[ random.py:84:43 @[ random.py:155:35 @[ dropout.py:14:27 ] ] ] ] ]
	v_mul_lo_u32 v3, 0xcd9e8d57, v3
	s_delay_alu instid0(VALU_DEP_2) | instskip(SKIP_1) | instid1(VALU_DEP_1)
	.loc	2 35 40                         ; random.py:35:40 @[ random.py:69:57 @[ random.py:110:54 @[ random.py:84:43 @[ random.py:155:35 @[ dropout.py:14:27 ] ] ] ] ]
	v_xor3_b32 v4, v4, v8, s14
.Ltmp129:
	.loc	1 16 35                         ; dropout.py:16:35
	v_rcp_f32_e32 v8, v10
.Ltmp130:
	.loc	2 36 28                         ; random.py:36:28 @[ random.py:69:57 @[ random.py:110:54 @[ random.py:84:43 @[ random.py:155:35 @[ dropout.py:14:27 ] ] ] ] ]
	v_mul_hi_u32 v4, 0xd2511f53, v4
	s_delay_alu instid0(VALU_DEP_1) | instskip(NEXT) | instid1(TRANS32_DEP_1)
	.loc	2 36 40 is_stmt 0               ; random.py:36:40 @[ random.py:69:57 @[ random.py:110:54 @[ random.py:84:43 @[ random.py:155:35 @[ dropout.py:14:27 ] ] ] ] ]
	v_xor3_b32 v2, v2, v4, s10
.Ltmp131:
	.loc	1 16 35 is_stmt 1               ; dropout.py:16:35
	v_fma_f32 v4, -v10, v8, 1.0
	s_delay_alu instid0(VALU_DEP_2) | instskip(NEXT) | instid1(VALU_DEP_2)
.Ltmp132:
	.loc	2 35 28                         ; random.py:35:28 @[ random.py:69:57 @[ random.py:110:54 @[ random.py:84:43 @[ random.py:155:35 @[ dropout.py:14:27 ] ] ] ] ]
	v_mul_hi_u32 v2, 0xcd9e8d57, v2
.Ltmp133:
	.loc	1 16 35                         ; dropout.py:16:35
	v_fmac_f32_e32 v8, v4, v8
	s_delay_alu instid0(VALU_DEP_1) | instskip(NEXT) | instid1(VALU_DEP_3)
	v_mul_f32_e32 v4, v9, v8
.Ltmp134:
	.loc	2 35 40                         ; random.py:35:40 @[ random.py:69:57 @[ random.py:110:54 @[ random.py:84:43 @[ random.py:155:35 @[ dropout.py:14:27 ] ] ] ] ]
	v_xor3_b32 v2, v3, v2, s9
	s_delay_alu instid0(VALU_DEP_2) | instskip(NEXT) | instid1(VALU_DEP_2)
.Ltmp135:
	.loc	1 16 35                         ; dropout.py:16:35
	v_fma_f32 v3, -v10, v4, v9
.Ltmp136:
	.loc	2 142 32                        ; random.py:142:32 @[ random.py:156:33 @[ dropout.py:14:27 ] ]
	v_ashrrev_i32_e32 v11, 31, v2
	s_delay_alu instid0(VALU_DEP_2) | instskip(NEXT) | instid1(VALU_DEP_2)
.Ltmp137:
	.loc	1 16 35                         ; dropout.py:16:35
	v_fmac_f32_e32 v4, v3, v8
.Ltmp138:
	.loc	2 142 32                        ; random.py:142:32 @[ random.py:156:33 @[ dropout.py:14:27 ] ]
	v_xor_b32_e32 v2, v11, v2
	s_delay_alu instid0(VALU_DEP_2) | instskip(NEXT) | instid1(VALU_DEP_2)
.Ltmp139:
	.loc	1 16 35                         ; dropout.py:16:35
	v_fma_f32 v3, -v10, v4, v9
.Ltmp140:
	.loc	2 143 15                        ; random.py:143:15 @[ random.py:156:33 @[ dropout.py:14:27 ] ]
	v_cvt_f32_i32_e32 v2, v2
.Ltmp141:
	.loc	1 16 35                         ; dropout.py:16:35
	s_wait_alu depctr_va_vcc(0)
	s_delay_alu instid0(VALU_DEP_2) | instskip(NEXT) | instid1(VALU_DEP_2)
	v_div_fmas_f32 v3, v3, v8, v4
.Ltmp142:
	.loc	2 143 15                        ; random.py:143:15 @[ random.py:156:33 @[ dropout.py:14:27 ] ]
	v_mul_f32_e32 v2, 0x2fffffff, v2
	s_delay_alu instid0(VALU_DEP_2) | instskip(NEXT) | instid1(VALU_DEP_2)
.Ltmp143:
	.loc	1 16 35                         ; dropout.py:16:35
	v_div_fixup_f32 v3, v3, s1, v7
	.loc	1 15 22                         ; dropout.py:15:22
	v_cmp_lt_f32_e32 vcc_lo, s8, v2
	.loc	1 16 43                         ; dropout.py:16:43
	s_wait_alu depctr_va_vcc(0)
	s_delay_alu instid0(VALU_DEP_2)
	v_cndmask_b32_e32 v2, 0, v3, vcc_lo
	.loc	1 17 35                         ; dropout.py:17:35
	global_store_b32 v[0:1], v2, off offset:3072
	s_wait_alu depctr_sa_sdst(0)
	s_or_b32 exec_lo, exec_lo, s3
	s_and_saveexec_b32 s2, s0
	s_cbranch_execz .LBB0_24
.LBB0_32:
.Ltmp144:
	.loc	2 36 28                         ; random.py:36:28 @[ random.py:69:57 @[ random.py:110:54 @[ random.py:84:43 @[ random.py:155:35 @[ dropout.py:14:27 ] ] ] ] ]
	v_mul_hi_u32 v2, 0xd2511f53, v6
	.loc	2 38 23                         ; random.py:38:23 @[ random.py:69:57 @[ random.py:110:54 @[ random.py:84:43 @[ random.py:155:35 @[ dropout.py:14:27 ] ] ] ] ]
	v_mul_lo_u32 v4, 0xd2511f53, v6
	s_delay_alu instid0(VALU_DEP_2) | instskip(NEXT) | instid1(VALU_DEP_2)
	.loc	2 36 40                         ; random.py:36:40 @[ random.py:69:57 @[ random.py:110:54 @[ random.py:84:43 @[ random.py:155:35 @[ dropout.py:14:27 ] ] ] ] ]
	v_xor_b32_e32 v2, s28, v2
	v_xor3_b32 v4, s23, s24, v4
	s_delay_alu instid0(VALU_DEP_2) | instskip(SKIP_2) | instid1(VALU_DEP_3)
	.loc	2 35 28                         ; random.py:35:28 @[ random.py:69:57 @[ random.py:110:54 @[ random.py:84:43 @[ random.py:155:35 @[ dropout.py:14:27 ] ] ] ] ]
	v_mul_hi_u32 v3, 0xcd9e8d57, v2
	.loc	2 37 23                         ; random.py:37:23 @[ random.py:69:57 @[ random.py:110:54 @[ random.py:84:43 @[ random.py:155:35 @[ dropout.py:14:27 ] ] ] ] ]
	v_mul_lo_u32 v2, 0xcd9e8d57, v2
	.loc	2 35 28                         ; random.py:35:28 @[ random.py:69:57 @[ random.py:110:54 @[ random.py:84:43 @[ random.py:155:35 @[ dropout.py:14:27 ] ] ] ] ]
	s_wait_loadcnt 0x0
	v_mul_hi_u32 v7, 0xcd9e8d57, v4
	.loc	2 37 23                         ; random.py:37:23 @[ random.py:69:57 @[ random.py:110:54 @[ random.py:84:43 @[ random.py:155:35 @[ dropout.py:14:27 ] ] ] ] ]
	v_mul_lo_u32 v4, 0xcd9e8d57, v4
	s_delay_alu instid0(VALU_DEP_4) | instskip(NEXT) | instid1(VALU_DEP_3)
	.loc	2 35 40                         ; random.py:35:40 @[ random.py:69:57 @[ random.py:110:54 @[ random.py:84:43 @[ random.py:155:35 @[ dropout.py:14:27 ] ] ] ] ]
	v_xor_b32_e32 v3, s27, v3
	v_xor3_b32 v2, v2, v7, s21
	s_delay_alu instid0(VALU_DEP_2) | instskip(SKIP_1) | instid1(VALU_DEP_3)
	.loc	2 36 28                         ; random.py:36:28 @[ random.py:69:57 @[ random.py:110:54 @[ random.py:84:43 @[ random.py:155:35 @[ dropout.py:14:27 ] ] ] ] ]
	v_mul_hi_u32 v6, 0xd2511f53, v3
	.loc	2 38 23                         ; random.py:38:23 @[ random.py:69:57 @[ random.py:110:54 @[ random.py:84:43 @[ random.py:155:35 @[ dropout.py:14:27 ] ] ] ] ]
	v_mul_lo_u32 v3, 0xd2511f53, v3
	.loc	2 36 28                         ; random.py:36:28 @[ random.py:69:57 @[ random.py:110:54 @[ random.py:84:43 @[ random.py:155:35 @[ dropout.py:14:27 ] ] ] ] ]
	v_mul_hi_u32 v7, 0xd2511f53, v2
	.loc	2 38 23                         ; random.py:38:23 @[ random.py:69:57 @[ random.py:110:54 @[ random.py:84:43 @[ random.py:155:35 @[ dropout.py:14:27 ] ] ] ] ]
	v_mul_lo_u32 v2, 0xd2511f53, v2
	s_delay_alu instid0(VALU_DEP_4) | instskip(NEXT) | instid1(VALU_DEP_3)
	.loc	2 36 40                         ; random.py:36:40 @[ random.py:69:57 @[ random.py:110:54 @[ random.py:84:43 @[ random.py:155:35 @[ dropout.py:14:27 ] ] ] ] ]
	v_xor3_b32 v6, s26, s25, v6
	v_xor3_b32 v3, v3, v7, s19
	s_delay_alu instid0(VALU_DEP_2) | instskip(SKIP_1) | instid1(VALU_DEP_3)
	.loc	2 35 28                         ; random.py:35:28 @[ random.py:69:57 @[ random.py:110:54 @[ random.py:84:43 @[ random.py:155:35 @[ dropout.py:14:27 ] ] ] ] ]
	v_mul_hi_u32 v8, 0xcd9e8d57, v6
	.loc	2 37 23                         ; random.py:37:23 @[ random.py:69:57 @[ random.py:110:54 @[ random.py:84:43 @[ random.py:155:35 @[ dropout.py:14:27 ] ] ] ] ]
	v_mul_lo_u32 v6, 0xcd9e8d57, v6
	.loc	2 35 28                         ; random.py:35:28 @[ random.py:69:57 @[ random.py:110:54 @[ random.py:84:43 @[ random.py:155:35 @[ dropout.py:14:27 ] ] ] ] ]
	v_mul_hi_u32 v7, 0xcd9e8d57, v3
	.loc	2 37 23                         ; random.py:37:23 @[ random.py:69:57 @[ random.py:110:54 @[ random.py:84:43 @[ random.py:155:35 @[ dropout.py:14:27 ] ] ] ] ]
	v_mul_lo_u32 v3, 0xcd9e8d57, v3
	s_delay_alu instid0(VALU_DEP_4) | instskip(NEXT) | instid1(VALU_DEP_3)
	.loc	2 35 40                         ; random.py:35:40 @[ random.py:69:57 @[ random.py:110:54 @[ random.py:84:43 @[ random.py:155:35 @[ dropout.py:14:27 ] ] ] ] ]
	v_xor3_b32 v4, v4, v8, s22
	;; [unrolled: 13-line block ×4, first 2 shown]
	v_xor3_b32 v2, v2, v7, s13
	s_delay_alu instid0(VALU_DEP_2) | instskip(SKIP_1) | instid1(VALU_DEP_3)
	.loc	2 36 28                         ; random.py:36:28 @[ random.py:69:57 @[ random.py:110:54 @[ random.py:84:43 @[ random.py:155:35 @[ dropout.py:14:27 ] ] ] ] ]
	v_mul_hi_u32 v8, 0xd2511f53, v3
	.loc	2 38 23                         ; random.py:38:23 @[ random.py:69:57 @[ random.py:110:54 @[ random.py:84:43 @[ random.py:155:35 @[ dropout.py:14:27 ] ] ] ] ]
	v_mul_lo_u32 v3, 0xd2511f53, v3
	.loc	2 36 28                         ; random.py:36:28 @[ random.py:69:57 @[ random.py:110:54 @[ random.py:84:43 @[ random.py:155:35 @[ dropout.py:14:27 ] ] ] ] ]
	v_mul_hi_u32 v7, 0xd2511f53, v2
	.loc	2 38 23                         ; random.py:38:23 @[ random.py:69:57 @[ random.py:110:54 @[ random.py:84:43 @[ random.py:155:35 @[ dropout.py:14:27 ] ] ] ] ]
	v_mul_lo_u32 v2, 0xd2511f53, v2
	s_delay_alu instid0(VALU_DEP_4) | instskip(SKIP_1) | instid1(VALU_DEP_4)
	.loc	2 36 40                         ; random.py:36:40 @[ random.py:69:57 @[ random.py:110:54 @[ random.py:84:43 @[ random.py:155:35 @[ dropout.py:14:27 ] ] ] ] ]
	v_xor3_b32 v6, v6, v8, s16
.Ltmp145:
	.loc	1 16 35                         ; dropout.py:16:35
	v_div_scale_f32 v8, null, s1, s1, v5
.Ltmp146:
	.loc	2 36 40                         ; random.py:36:40 @[ random.py:69:57 @[ random.py:110:54 @[ random.py:84:43 @[ random.py:155:35 @[ dropout.py:14:27 ] ] ] ] ]
	v_xor3_b32 v3, v3, v7, s12
.Ltmp147:
	.loc	1 16 35                         ; dropout.py:16:35
	v_div_scale_f32 v7, vcc_lo, v5, s1, v5
	s_delay_alu instid0(VALU_DEP_4) | instskip(NEXT) | instid1(VALU_DEP_3)
.Ltmp148:
	.loc	2 35 28                         ; random.py:35:28 @[ random.py:69:57 @[ random.py:110:54 @[ random.py:84:43 @[ random.py:155:35 @[ dropout.py:14:27 ] ] ] ] ]
	v_mul_hi_u32 v6, 0xcd9e8d57, v6
	.loc	2 37 23                         ; random.py:37:23 @[ random.py:69:57 @[ random.py:110:54 @[ random.py:84:43 @[ random.py:155:35 @[ dropout.py:14:27 ] ] ] ] ]
	v_mul_lo_u32 v3, 0xcd9e8d57, v3
	s_delay_alu instid0(VALU_DEP_2) | instskip(SKIP_1) | instid1(VALU_DEP_1)
	.loc	2 35 40                         ; random.py:35:40 @[ random.py:69:57 @[ random.py:110:54 @[ random.py:84:43 @[ random.py:155:35 @[ dropout.py:14:27 ] ] ] ] ]
	v_xor3_b32 v4, v4, v6, s14
.Ltmp149:
	.loc	1 16 35                         ; dropout.py:16:35
	v_rcp_f32_e32 v6, v8
.Ltmp150:
	.loc	2 36 28                         ; random.py:36:28 @[ random.py:69:57 @[ random.py:110:54 @[ random.py:84:43 @[ random.py:155:35 @[ dropout.py:14:27 ] ] ] ] ]
	v_mul_hi_u32 v4, 0xd2511f53, v4
	s_delay_alu instid0(VALU_DEP_1) | instskip(NEXT) | instid1(TRANS32_DEP_1)
	.loc	2 36 40 is_stmt 0               ; random.py:36:40 @[ random.py:69:57 @[ random.py:110:54 @[ random.py:84:43 @[ random.py:155:35 @[ dropout.py:14:27 ] ] ] ] ]
	v_xor3_b32 v2, v2, v4, s10
.Ltmp151:
	.loc	1 16 35 is_stmt 1               ; dropout.py:16:35
	v_fma_f32 v4, -v8, v6, 1.0
	s_delay_alu instid0(VALU_DEP_2) | instskip(NEXT) | instid1(VALU_DEP_2)
.Ltmp152:
	.loc	2 35 28                         ; random.py:35:28 @[ random.py:69:57 @[ random.py:110:54 @[ random.py:84:43 @[ random.py:155:35 @[ dropout.py:14:27 ] ] ] ] ]
	v_mul_hi_u32 v2, 0xcd9e8d57, v2
.Ltmp153:
	.loc	1 16 35                         ; dropout.py:16:35
	v_fmac_f32_e32 v6, v4, v6
	s_delay_alu instid0(VALU_DEP_1) | instskip(NEXT) | instid1(VALU_DEP_3)
	v_mul_f32_e32 v4, v7, v6
.Ltmp154:
	.loc	2 35 40                         ; random.py:35:40 @[ random.py:69:57 @[ random.py:110:54 @[ random.py:84:43 @[ random.py:155:35 @[ dropout.py:14:27 ] ] ] ] ]
	v_xor3_b32 v2, v3, v2, s9
	s_delay_alu instid0(VALU_DEP_2) | instskip(NEXT) | instid1(VALU_DEP_2)
.Ltmp155:
	.loc	1 16 35                         ; dropout.py:16:35
	v_fma_f32 v3, -v8, v4, v7
.Ltmp156:
	.loc	2 142 32                        ; random.py:142:32 @[ random.py:156:33 @[ dropout.py:14:27 ] ]
	v_ashrrev_i32_e32 v9, 31, v2
	s_delay_alu instid0(VALU_DEP_2) | instskip(NEXT) | instid1(VALU_DEP_2)
.Ltmp157:
	.loc	1 16 35                         ; dropout.py:16:35
	v_fmac_f32_e32 v4, v3, v6
.Ltmp158:
	.loc	2 142 32                        ; random.py:142:32 @[ random.py:156:33 @[ dropout.py:14:27 ] ]
	v_xor_b32_e32 v2, v9, v2
	s_delay_alu instid0(VALU_DEP_2) | instskip(NEXT) | instid1(VALU_DEP_2)
.Ltmp159:
	.loc	1 16 35                         ; dropout.py:16:35
	v_fma_f32 v3, -v8, v4, v7
.Ltmp160:
	.loc	2 143 15                        ; random.py:143:15 @[ random.py:156:33 @[ dropout.py:14:27 ] ]
	v_cvt_f32_i32_e32 v2, v2
.Ltmp161:
	.loc	1 16 35                         ; dropout.py:16:35
	s_wait_alu depctr_va_vcc(0)
	s_delay_alu instid0(VALU_DEP_2) | instskip(NEXT) | instid1(VALU_DEP_2)
	v_div_fmas_f32 v3, v3, v6, v4
.Ltmp162:
	.loc	2 143 15                        ; random.py:143:15 @[ random.py:156:33 @[ dropout.py:14:27 ] ]
	v_mul_f32_e32 v2, 0x2fffffff, v2
	s_delay_alu instid0(VALU_DEP_2) | instskip(NEXT) | instid1(VALU_DEP_2)
.Ltmp163:
	.loc	1 16 35                         ; dropout.py:16:35
	v_div_fixup_f32 v3, v3, s1, v5
	.loc	1 15 22                         ; dropout.py:15:22
	v_cmp_lt_f32_e32 vcc_lo, s8, v2
	.loc	1 16 43                         ; dropout.py:16:43
	s_wait_alu depctr_va_vcc(0)
	s_delay_alu instid0(VALU_DEP_2)
	v_cndmask_b32_e32 v2, 0, v3, vcc_lo
	.loc	1 17 35                         ; dropout.py:17:35
	global_store_b32 v[0:1], v2, off offset:3584
	.loc	1 17 4 is_stmt 0                ; dropout.py:17:4
	s_endpgm
.Ltmp164:
	.section	.rodata,"a",@progbits
	.p2align	6, 0x0
	.amdhsa_kernel seeded_dropout_kernel
		.amdhsa_group_segment_fixed_size 0
		.amdhsa_private_segment_fixed_size 0
		.amdhsa_kernarg_size 48
		.amdhsa_user_sgpr_count 2
		.amdhsa_user_sgpr_dispatch_ptr 0
		.amdhsa_user_sgpr_queue_ptr 0
		.amdhsa_user_sgpr_kernarg_segment_ptr 1
		.amdhsa_user_sgpr_dispatch_id 0
		.amdhsa_user_sgpr_private_segment_size 0
		.amdhsa_wavefront_size32 1
		.amdhsa_uses_dynamic_stack 0
		.amdhsa_enable_private_segment 0
		.amdhsa_system_sgpr_workgroup_id_x 1
		.amdhsa_system_sgpr_workgroup_id_y 1
		.amdhsa_system_sgpr_workgroup_id_z 1
		.amdhsa_system_sgpr_workgroup_info 0
		.amdhsa_system_vgpr_workitem_id 0
		.amdhsa_next_free_vgpr 24
		.amdhsa_next_free_sgpr 29
		.amdhsa_reserve_vcc 1
		.amdhsa_float_round_mode_32 0
		.amdhsa_float_round_mode_16_64 0
		.amdhsa_float_denorm_mode_32 3
		.amdhsa_float_denorm_mode_16_64 3
		.amdhsa_fp16_overflow 0
		.amdhsa_workgroup_processor_mode 1
		.amdhsa_memory_ordered 1
		.amdhsa_forward_progress 1
		.amdhsa_inst_pref_size 52
		.amdhsa_round_robin_scheduling 0
		.amdhsa_exception_fp_ieee_invalid_op 0
		.amdhsa_exception_fp_denorm_src 0
		.amdhsa_exception_fp_ieee_div_zero 0
		.amdhsa_exception_fp_ieee_overflow 0
		.amdhsa_exception_fp_ieee_underflow 0
		.amdhsa_exception_fp_ieee_inexact 0
		.amdhsa_exception_int_div_zero 0
	.end_amdhsa_kernel
	.text
.Lfunc_end0:
	.size	seeded_dropout_kernel, .Lfunc_end0-seeded_dropout_kernel
	.cfi_endproc
                                        ; -- End function
	.set seeded_dropout_kernel.num_vgpr, 24
	.set seeded_dropout_kernel.num_agpr, 0
	.set seeded_dropout_kernel.numbered_sgpr, 29
	.set seeded_dropout_kernel.num_named_barrier, 0
	.set seeded_dropout_kernel.private_seg_size, 0
	.set seeded_dropout_kernel.uses_vcc, 1
	.set seeded_dropout_kernel.uses_flat_scratch, 0
	.set seeded_dropout_kernel.has_dyn_sized_stack, 0
	.set seeded_dropout_kernel.has_recursion, 0
	.set seeded_dropout_kernel.has_indirect_call, 0
	.section	.AMDGPU.csdata,"",@progbits
; Kernel info:
; codeLenInByte = 6564
; TotalNumSgprs: 31
; NumVgprs: 24
; ScratchSize: 0
; MemoryBound: 0
; FloatMode: 240
; IeeeMode: 1
; LDSByteSize: 0 bytes/workgroup (compile time only)
; SGPRBlocks: 0
; VGPRBlocks: 2
; NumSGPRsForWavesPerEU: 31
; NumVGPRsForWavesPerEU: 24
; Occupancy: 16
; WaveLimiterHint : 0
; COMPUTE_PGM_RSRC2:SCRATCH_EN: 0
; COMPUTE_PGM_RSRC2:USER_SGPR: 2
; COMPUTE_PGM_RSRC2:TRAP_HANDLER: 0
; COMPUTE_PGM_RSRC2:TGID_X_EN: 1
; COMPUTE_PGM_RSRC2:TGID_Y_EN: 1
; COMPUTE_PGM_RSRC2:TGID_Z_EN: 1
; COMPUTE_PGM_RSRC2:TIDIG_COMP_CNT: 0
	.text
	.p2alignl 7, 3214868480
	.fill 96, 4, 3214868480
	.section	.AMDGPU.gpr_maximums,"",@progbits
	.set amdgpu.max_num_vgpr, 0
	.set amdgpu.max_num_agpr, 0
	.set amdgpu.max_num_sgpr, 0
	.set amdgpu.max_num_named_barrier, 0
	.text
	.section	.debug_abbrev,"",@progbits
	.byte	1                               ; Abbreviation Code
	.byte	17                              ; DW_TAG_compile_unit
	.byte	1                               ; DW_CHILDREN_yes
	.byte	37                              ; DW_AT_producer
	.byte	14                              ; DW_FORM_strp
	.byte	19                              ; DW_AT_language
	.byte	5                               ; DW_FORM_data2
	.byte	3                               ; DW_AT_name
	.byte	14                              ; DW_FORM_strp
	.byte	16                              ; DW_AT_stmt_list
	.byte	23                              ; DW_FORM_sec_offset
	.byte	27                              ; DW_AT_comp_dir
	.byte	14                              ; DW_FORM_strp
	.byte	17                              ; DW_AT_low_pc
	.byte	1                               ; DW_FORM_addr
	.byte	18                              ; DW_AT_high_pc
	.byte	6                               ; DW_FORM_data4
	.byte	0                               ; EOM(1)
	.byte	0                               ; EOM(2)
	.byte	2                               ; Abbreviation Code
	.byte	46                              ; DW_TAG_subprogram
	.byte	0                               ; DW_CHILDREN_no
	.byte	3                               ; DW_AT_name
	.byte	14                              ; DW_FORM_strp
	.byte	32                              ; DW_AT_inline
	.byte	11                              ; DW_FORM_data1
	.byte	0                               ; EOM(1)
	.byte	0                               ; EOM(2)
	.byte	3                               ; Abbreviation Code
	.byte	46                              ; DW_TAG_subprogram
	.byte	1                               ; DW_CHILDREN_yes
	.byte	17                              ; DW_AT_low_pc
	.byte	1                               ; DW_FORM_addr
	.byte	18                              ; DW_AT_high_pc
	.byte	6                               ; DW_FORM_data4
	.byte	49                              ; DW_AT_abstract_origin
	.byte	19                              ; DW_FORM_ref4
	.byte	0                               ; EOM(1)
	.byte	0                               ; EOM(2)
	.byte	4                               ; Abbreviation Code
	.byte	29                              ; DW_TAG_inlined_subroutine
	.byte	1                               ; DW_CHILDREN_yes
	.byte	49                              ; DW_AT_abstract_origin
	.byte	19                              ; DW_FORM_ref4
	.byte	85                              ; DW_AT_ranges
	.byte	23                              ; DW_FORM_sec_offset
	.byte	88                              ; DW_AT_call_file
	.byte	11                              ; DW_FORM_data1
	.byte	89                              ; DW_AT_call_line
	.byte	11                              ; DW_FORM_data1
	.byte	87                              ; DW_AT_call_column
	.byte	11                              ; DW_FORM_data1
	.byte	0                               ; EOM(1)
	.byte	0                               ; EOM(2)
	.byte	5                               ; Abbreviation Code
	.byte	29                              ; DW_TAG_inlined_subroutine
	.byte	0                               ; DW_CHILDREN_no
	.byte	49                              ; DW_AT_abstract_origin
	.byte	19                              ; DW_FORM_ref4
	.byte	85                              ; DW_AT_ranges
	.byte	23                              ; DW_FORM_sec_offset
	.byte	88                              ; DW_AT_call_file
	.byte	11                              ; DW_FORM_data1
	.byte	89                              ; DW_AT_call_line
	.byte	11                              ; DW_FORM_data1
	.byte	87                              ; DW_AT_call_column
	.byte	11                              ; DW_FORM_data1
	.byte	0                               ; EOM(1)
	.byte	0                               ; EOM(2)
	;; [unrolled: 1-line block ×3, first 2 shown]
	.section	.debug_info,"",@progbits
.Lcu_begin0:
	.long	.Ldebug_info_end0-.Ldebug_info_start0 ; Length of Unit
.Ldebug_info_start0:
	.short	4                               ; DWARF version number
	.long	.debug_abbrev                   ; Offset Into Abbrev. Section
	.byte	8                               ; Address Size (in bytes)
	.byte	1                               ; Abbrev [1] 0xb:0x84 DW_TAG_compile_unit
	.long	.Linfo_string0                  ; DW_AT_producer
	.short	2                               ; DW_AT_language
	.long	.Linfo_string1                  ; DW_AT_name
	.long	.Lline_table_start0             ; DW_AT_stmt_list
	.long	.Linfo_string2                  ; DW_AT_comp_dir
	.quad	.Lfunc_begin0                   ; DW_AT_low_pc
	.long	.Lfunc_end0-.Lfunc_begin0       ; DW_AT_high_pc
	.byte	2                               ; Abbrev [2] 0x2a:0x6 DW_TAG_subprogram
	.long	.Linfo_string3                  ; DW_AT_name
	.byte	1                               ; DW_AT_inline
	.byte	3                               ; Abbrev [3] 0x30:0x5e DW_TAG_subprogram
	.quad	.Lfunc_begin0                   ; DW_AT_low_pc
	.long	.Lfunc_end0-.Lfunc_begin0       ; DW_AT_high_pc
	.long	42                              ; DW_AT_abstract_origin
	.byte	4                               ; Abbrev [4] 0x41:0x4c DW_TAG_inlined_subroutine
	.long	42                              ; DW_AT_abstract_origin
	.long	.Ldebug_ranges0                 ; DW_AT_ranges
	.byte	1                               ; DW_AT_call_file
	.byte	14                              ; DW_AT_call_line
	.byte	27                              ; DW_AT_call_column
	.byte	4                               ; Abbrev [4] 0x4d:0x33 DW_TAG_inlined_subroutine
	.long	42                              ; DW_AT_abstract_origin
	.long	.Ldebug_ranges1                 ; DW_AT_ranges
	.byte	2                               ; DW_AT_call_file
	.byte	155                             ; DW_AT_call_line
	.byte	35                              ; DW_AT_call_column
	.byte	4                               ; Abbrev [4] 0x59:0x26 DW_TAG_inlined_subroutine
	.long	42                              ; DW_AT_abstract_origin
	.long	.Ldebug_ranges1                 ; DW_AT_ranges
	.byte	2                               ; DW_AT_call_file
	.byte	84                              ; DW_AT_call_line
	.byte	43                              ; DW_AT_call_column
	.byte	4                               ; Abbrev [4] 0x65:0x19 DW_TAG_inlined_subroutine
	.long	42                              ; DW_AT_abstract_origin
	.long	.Ldebug_ranges1                 ; DW_AT_ranges
	.byte	2                               ; DW_AT_call_file
	.byte	110                             ; DW_AT_call_line
	.byte	54                              ; DW_AT_call_column
	.byte	5                               ; Abbrev [5] 0x71:0xc DW_TAG_inlined_subroutine
	.long	42                              ; DW_AT_abstract_origin
	.long	.Ldebug_ranges2                 ; DW_AT_ranges
	.byte	2                               ; DW_AT_call_file
	.byte	69                              ; DW_AT_call_line
	.byte	57                              ; DW_AT_call_column
	.byte	0                               ; End Of Children Mark
	.byte	0                               ; End Of Children Mark
	;; [unrolled: 1-line block ×3, first 2 shown]
	.byte	5                               ; Abbrev [5] 0x80:0xc DW_TAG_inlined_subroutine
	.long	42                              ; DW_AT_abstract_origin
	.long	.Ldebug_ranges3                 ; DW_AT_ranges
	.byte	2                               ; DW_AT_call_file
	.byte	156                             ; DW_AT_call_line
	.byte	33                              ; DW_AT_call_column
	.byte	0                               ; End Of Children Mark
	.byte	0                               ; End Of Children Mark
	;; [unrolled: 1-line block ×3, first 2 shown]
.Ldebug_info_end0:
	.section	.debug_ranges,"",@progbits
.Ldebug_ranges0:
	.quad	.Ltmp0-.Lfunc_begin0
	.quad	.Ltmp1-.Lfunc_begin0
	;; [unrolled: 1-line block ×164, first 2 shown]
	.quad	0
	.quad	0
.Ldebug_ranges1:
	.quad	.Ltmp0-.Lfunc_begin0
	.quad	.Ltmp1-.Lfunc_begin0
	;; [unrolled: 1-line block ×100, first 2 shown]
	.quad	0
	.quad	0
.Ldebug_ranges2:
	.quad	.Ltmp2-.Lfunc_begin0
	.quad	.Ltmp3-.Lfunc_begin0
	;; [unrolled: 1-line block ×98, first 2 shown]
	.quad	0
	.quad	0
.Ldebug_ranges3:
	.quad	.Ltmp16-.Lfunc_begin0
	.quad	.Ltmp17-.Lfunc_begin0
	;; [unrolled: 1-line block ×64, first 2 shown]
	.quad	0
	.quad	0
	.section	.debug_str,"MS",@progbits,1
.Linfo_string0:
	.asciz	"triton"                        ; string offset=0
.Linfo_string1:
	.asciz	"dropout.py"                    ; string offset=7
.Linfo_string2:
	.asciz	"/root/src/amdgpu-assembly/repos/triton-lang__triton-aot" ; string offset=18
.Linfo_string3:
	.asciz	"seeded_dropout_kernel"         ; string offset=74
	.section	".note.GNU-stack","",@progbits
	.amdgpu_metadata
---
amdhsa.kernels:
  - .args:
      - .address_space:  global
        .offset:         0
        .size:           8
        .value_kind:     global_buffer
      - .address_space:  global
        .offset:         8
        .size:           8
        .value_kind:     global_buffer
      - .offset:         16
        .size:           4
        .value_kind:     by_value
      - .offset:         20
        .size:           4
        .value_kind:     by_value
      - .offset:         24
        .size:           4
        .value_kind:     by_value
      - .address_space:  global
        .offset:         32
        .size:           8
        .value_kind:     global_buffer
      - .address_space:  global
        .offset:         40
        .size:           8
        .value_kind:     global_buffer
    .group_segment_fixed_size: 0
    .kernarg_segment_align: 8
    .kernarg_segment_size: 48
    .max_flat_workgroup_size: 128
    .name:           seeded_dropout_kernel
    .private_segment_fixed_size: 0
    .sgpr_count:     31
    .sgpr_spill_count: 0
    .symbol:         seeded_dropout_kernel.kd
    .uniform_work_group_size: 1
    .uses_dynamic_stack: false
    .vgpr_count:     24
    .vgpr_spill_count: 0
    .wavefront_size: 32
    .workgroup_processor_mode: 1
amdhsa.target:   amdgcn-amd-amdhsa--gfx1201
amdhsa.version:
  - 1
  - 2
...

	.end_amdgpu_metadata
	.section	.debug_line,"",@progbits
.Lline_table_start0:
